;; amdgpu-corpus repo=ROCm/rocFFT kind=compiled arch=gfx906 opt=O3
	.text
	.amdgcn_target "amdgcn-amd-amdhsa--gfx906"
	.amdhsa_code_object_version 6
	.protected	bluestein_single_fwd_len1260_dim1_sp_op_CI_CI ; -- Begin function bluestein_single_fwd_len1260_dim1_sp_op_CI_CI
	.globl	bluestein_single_fwd_len1260_dim1_sp_op_CI_CI
	.p2align	8
	.type	bluestein_single_fwd_len1260_dim1_sp_op_CI_CI,@function
bluestein_single_fwd_len1260_dim1_sp_op_CI_CI: ; @bluestein_single_fwd_len1260_dim1_sp_op_CI_CI
; %bb.0:
	s_load_dwordx4 s[16:19], s[4:5], 0x28
	s_mov_b64 s[22:23], s[2:3]
	v_mul_u32_u24_e32 v1, 0x411, v0
	s_mov_b64 s[20:21], s[0:1]
	v_add_u32_sdwa v146, s6, v1 dst_sel:DWORD dst_unused:UNUSED_PAD src0_sel:DWORD src1_sel:WORD_1
	v_mov_b32_e32 v147, 0
	s_add_u32 s20, s20, s7
	s_waitcnt lgkmcnt(0)
	v_cmp_gt_u64_e32 vcc, s[16:17], v[146:147]
	s_addc_u32 s21, s21, 0
	s_and_saveexec_b64 s[0:1], vcc
	s_cbranch_execz .LBB0_26
; %bb.1:
	s_load_dwordx4 s[0:3], s[4:5], 0x18
	s_load_dwordx4 s[12:15], s[4:5], 0x0
	v_mov_b32_e32 v2, 63
	v_mul_lo_u16_sdwa v1, v1, v2 dst_sel:DWORD dst_unused:UNUSED_PAD src0_sel:WORD_1 src1_sel:DWORD
	v_sub_u16_e32 v200, v0, v1
	s_waitcnt lgkmcnt(0)
	s_load_dwordx4 s[8:11], s[0:1], 0x0
	v_lshlrev_b32_e32 v199, 3, v200
	s_movk_i32 s6, 0x1000
	global_load_dwordx2 v[167:168], v199, s[12:13]
	v_add_u32_e32 v51, 0x800, v199
	s_waitcnt lgkmcnt(0)
	v_mad_u64_u32 v[0:1], s[0:1], s10, v146, 0
	v_mad_u64_u32 v[2:3], s[0:1], s8, v200, 0
	s_mul_hi_u32 s7, s8, 0xffffee48
	s_sub_i32 s7, s7, s8
	v_mad_u64_u32 v[4:5], s[0:1], s11, v146, v[1:2]
	v_add_u32_e32 v53, 0x2000, v199
	v_add_u32_e32 v54, 0xc00, v199
	v_mad_u64_u32 v[5:6], s[0:1], s9, v200, v[3:4]
	v_mov_b32_e32 v1, v4
	v_lshlrev_b64 v[0:1], 3, v[0:1]
	v_mov_b32_e32 v6, s19
	v_mov_b32_e32 v3, v5
	v_add_co_u32_e32 v4, vcc, s18, v0
	v_addc_co_u32_e32 v5, vcc, v6, v1, vcc
	v_lshlrev_b64 v[0:1], 3, v[2:3]
	v_mov_b32_e32 v2, s13
	v_add_co_u32_e32 v0, vcc, v4, v0
	v_addc_co_u32_e32 v1, vcc, v5, v1, vcc
	v_add_co_u32_e32 v30, vcc, s12, v199
	s_mul_i32 s0, s9, 0x13b0
	s_mul_hi_u32 s1, s8, 0x13b0
	v_addc_co_u32_e32 v31, vcc, 0, v2, vcc
	s_add_i32 s0, s1, s0
	s_mul_i32 s1, s8, 0x13b0
	v_mov_b32_e32 v3, s0
	v_add_co_u32_e32 v2, vcc, s1, v0
	v_addc_co_u32_e32 v3, vcc, v1, v3, vcc
	v_add_co_u32_e32 v8, vcc, s6, v30
	s_mul_i32 s6, s9, 0xffffee48
	v_addc_co_u32_e32 v9, vcc, 0, v31, vcc
	s_add_i32 s6, s7, s6
	s_mul_i32 s7, s8, 0xffffee48
	global_load_dwordx2 v[4:5], v[0:1], off
	global_load_dwordx2 v[6:7], v[2:3], off
	v_mov_b32_e32 v1, s6
	v_add_co_u32_e32 v0, vcc, s7, v2
	v_addc_co_u32_e32 v1, vcc, v3, v1, vcc
	global_load_dwordx2 v[163:164], v[8:9], off offset:944
	global_load_dwordx2 v[2:3], v[0:1], off
	global_load_dwordx2 v[161:162], v199, s[12:13] offset:504
	v_mov_b32_e32 v10, s0
	v_add_co_u32_e32 v0, vcc, s1, v0
	v_addc_co_u32_e32 v1, vcc, v1, v10, vcc
	global_load_dwordx2 v[10:11], v[0:1], off
	global_load_dwordx2 v[157:158], v[8:9], off offset:1448
	v_mov_b32_e32 v12, s6
	v_add_co_u32_e32 v0, vcc, s7, v0
	v_addc_co_u32_e32 v1, vcc, v1, v12, vcc
	v_mov_b32_e32 v15, s0
	v_add_co_u32_e32 v14, vcc, s1, v0
	global_load_dwordx2 v[12:13], v[0:1], off
	global_load_dwordx2 v[153:154], v199, s[12:13] offset:1008
	v_addc_co_u32_e32 v15, vcc, v1, v15, vcc
	global_load_dwordx2 v[151:152], v[8:9], off offset:1952
	global_load_dwordx2 v[0:1], v[14:15], off
	s_load_dwordx4 s[8:11], s[2:3], 0x0
	global_load_dwordx2 v[147:148], v199, s[12:13] offset:1512
	global_load_dwordx2 v[140:141], v[8:9], off offset:440
	s_movk_i32 s2, 0x7e
	v_add_co_u32_e32 v78, vcc, 63, v200
	v_add_co_u32_e32 v243, vcc, s2, v200
	s_movk_i32 s2, 0x2000
	v_add_u32_e32 v55, 0x1400, v199
	v_add_u32_e32 v56, 0x1c00, v199
	v_lshlrev_b32_e32 v202, 4, v200
	v_lshlrev_b32_e32 v52, 1, v200
	v_add_u32_e32 v80, 0x237, v200
	v_add_u32_e32 v81, 0x1b9, v200
	;; [unrolled: 1-line block ×3, first 2 shown]
	s_load_dwordx2 s[4:5], s[4:5], 0x38
	s_waitcnt vmcnt(12)
	v_mul_f32_e32 v16, v5, v168
	v_mul_f32_e32 v17, v4, v168
	v_fmac_f32_e32 v16, v4, v167
	v_fma_f32 v17, v5, v167, -v17
	s_waitcnt vmcnt(10)
	v_mul_f32_e32 v4, v7, v164
	v_mul_f32_e32 v5, v6, v164
	v_fmac_f32_e32 v4, v6, v163
	v_fma_f32 v5, v7, v163, -v5
	;; [unrolled: 5-line block ×3, first 2 shown]
	ds_write_b64 v199, v[4:5] offset:5040
	ds_write2_b64 v199, v[16:17], v[6:7] offset1:63
	s_waitcnt vmcnt(6)
	v_mul_f32_e32 v2, v11, v158
	v_mul_f32_e32 v3, v10, v158
	v_fmac_f32_e32 v2, v10, v157
	v_add_co_u32_e32 v10, vcc, s7, v14
	v_fma_f32 v3, v11, v157, -v3
	s_waitcnt vmcnt(4)
	v_mul_f32_e32 v4, v13, v154
	v_mul_f32_e32 v5, v12, v154
	v_fmac_f32_e32 v4, v12, v153
	s_waitcnt vmcnt(2)
	v_mul_f32_e32 v6, v1, v152
	v_fmac_f32_e32 v6, v0, v151
	v_mul_f32_e32 v0, v0, v152
	v_fma_f32 v7, v1, v151, -v0
	v_mov_b32_e32 v1, s6
	v_addc_co_u32_e32 v11, vcc, v15, v1, vcc
	v_fma_f32 v5, v13, v153, -v5
	global_load_dwordx2 v[12:13], v[10:11], off
	v_mov_b32_e32 v1, s0
	v_add_co_u32_e32 v10, vcc, s1, v10
	v_addc_co_u32_e32 v11, vcc, v11, v1, vcc
	global_load_dwordx2 v[14:15], v[10:11], off
	v_mov_b32_e32 v1, s6
	v_add_co_u32_e32 v10, vcc, s7, v10
	v_addc_co_u32_e32 v11, vcc, v11, v1, vcc
	;; [unrolled: 4-line block ×3, first 2 shown]
	global_load_dwordx2 v[18:19], v[10:11], off
	global_load_dwordx2 v[179:180], v[8:9], off offset:2456
	global_load_dwordx2 v[175:176], v[8:9], off offset:2960
	v_mov_b32_e32 v1, s6
	v_add_co_u32_e32 v10, vcc, s7, v10
	v_addc_co_u32_e32 v11, vcc, v11, v1, vcc
	global_load_dwordx2 v[20:21], v[10:11], off
	global_load_dwordx2 v[177:178], v199, s[12:13] offset:2016
	global_load_dwordx2 v[173:174], v199, s[12:13] offset:2520
	v_mov_b32_e32 v1, s0
	v_add_co_u32_e32 v10, vcc, s1, v10
	v_addc_co_u32_e32 v11, vcc, v11, v1, vcc
	global_load_dwordx2 v[22:23], v[10:11], off
	v_mov_b32_e32 v1, s6
	v_add_co_u32_e32 v10, vcc, s7, v10
	v_addc_co_u32_e32 v11, vcc, v11, v1, vcc
	global_load_dwordx2 v[24:25], v[10:11], off
	;; [unrolled: 4-line block ×3, first 2 shown]
	global_load_dwordx2 v[171:172], v[8:9], off offset:3464
	global_load_dwordx2 v[165:166], v[8:9], off offset:3968
	v_mov_b32_e32 v1, s6
	v_add_co_u32_e32 v8, vcc, s7, v10
	v_addc_co_u32_e32 v9, vcc, v11, v1, vcc
	global_load_dwordx2 v[10:11], v[8:9], off
	global_load_dwordx2 v[169:170], v199, s[12:13] offset:3024
	global_load_dwordx2 v[159:160], v199, s[12:13] offset:3528
	v_mov_b32_e32 v1, s0
	v_add_co_u32_e32 v8, vcc, s1, v8
	v_addc_co_u32_e32 v9, vcc, v9, v1, vcc
	v_add_co_u32_e32 v30, vcc, s2, v30
	v_addc_co_u32_e32 v31, vcc, 0, v31, vcc
	global_load_dwordx2 v[28:29], v[8:9], off
	v_mov_b32_e32 v1, s6
	v_add_co_u32_e32 v8, vcc, s7, v8
	v_addc_co_u32_e32 v9, vcc, v9, v1, vcc
	global_load_dwordx2 v[155:156], v[30:31], off offset:376
	global_load_dwordx2 v[32:33], v[8:9], off
	global_load_dwordx2 v[149:150], v199, s[12:13] offset:4032
	v_mov_b32_e32 v1, s0
	v_add_co_u32_e32 v8, vcc, s1, v8
	v_addc_co_u32_e32 v9, vcc, v9, v1, vcc
	global_load_dwordx2 v[34:35], v[8:9], off
	global_load_dwordx2 v[144:145], v[30:31], off offset:880
	v_mov_b32_e32 v1, s6
	v_add_co_u32_e32 v8, vcc, s7, v8
	v_addc_co_u32_e32 v9, vcc, v9, v1, vcc
	global_load_dwordx2 v[36:37], v[8:9], off
	v_mov_b32_e32 v1, s0
	v_add_co_u32_e32 v8, vcc, s1, v8
	v_addc_co_u32_e32 v9, vcc, v9, v1, vcc
	global_load_dwordx2 v[38:39], v[8:9], off
	global_load_dwordx2 v[142:143], v[30:31], off offset:1384
	v_add_u32_e32 v0, 0x1000, v199
	ds_write2_b64 v0, v[2:3], v[6:7] offset0:181 offset1:244
	s_waitcnt vmcnt(25)
	v_mul_f32_e32 v1, v13, v148
	v_mul_f32_e32 v2, v12, v148
	v_fmac_f32_e32 v1, v12, v147
	v_fma_f32 v2, v13, v147, -v2
	ds_write2_b64 v199, v[4:5], v[1:2] offset0:126 offset1:189
	v_add_u32_e32 v2, 0x1800, v199
	s_movk_i32 s0, 0xbd
	v_add_co_u32_e32 v79, vcc, s0, v200
	s_movk_i32 s0, 0xfc
	v_add_co_u32_e32 v85, vcc, s0, v200
	s_waitcnt vmcnt(21)
	v_mul_f32_e32 v1, v14, v180
	v_fma_f32 v4, v15, v179, -v1
	v_mul_f32_e32 v3, v15, v180
	s_waitcnt vmcnt(20)
	v_mul_f32_e32 v7, v19, v176
	v_fmac_f32_e32 v3, v14, v179
	s_waitcnt vmcnt(18)
	v_mul_f32_e32 v1, v16, v178
	v_fma_f32 v6, v17, v177, -v1
	v_mul_f32_e32 v1, v18, v176
	v_fmac_f32_e32 v7, v18, v175
	v_fma_f32 v8, v19, v175, -v1
	v_mul_f32_e32 v5, v17, v178
	ds_write2_b64 v2, v[3:4], v[7:8] offset0:51 offset1:114
	s_waitcnt vmcnt(17)
	v_mul_f32_e32 v3, v21, v174
	v_mul_f32_e32 v1, v20, v174
	v_fmac_f32_e32 v5, v16, v177
	v_fmac_f32_e32 v3, v20, v173
	v_fma_f32 v4, v21, v173, -v1
	v_add_u32_e32 v1, 0x400, v199
	ds_write2_b64 v1, v[5:6], v[3:4] offset0:124 offset1:187
	s_movk_i32 s1, 0x13b
	v_add_co_u32_e32 v84, vcc, s1, v200
	s_movk_i32 s1, 0x17a
	s_waitcnt vmcnt(13)
	v_mul_f32_e32 v3, v23, v172
	v_mul_f32_e32 v4, v22, v172
	s_waitcnt vmcnt(12)
	v_mul_f32_e32 v7, v27, v166
	v_mul_f32_e32 v8, v26, v166
	v_fmac_f32_e32 v3, v22, v171
	v_fma_f32 v4, v23, v171, -v4
	v_fmac_f32_e32 v7, v26, v165
	v_fma_f32 v8, v27, v165, -v8
	s_waitcnt vmcnt(10)
	v_mul_f32_e32 v5, v25, v170
	v_mul_f32_e32 v6, v24, v170
	ds_write2_b64 v2, v[3:4], v[7:8] offset0:177 offset1:240
	s_waitcnt vmcnt(9)
	v_mul_f32_e32 v3, v11, v160
	v_mul_f32_e32 v4, v10, v160
	v_fmac_f32_e32 v5, v24, v169
	v_fma_f32 v6, v25, v169, -v6
	v_fmac_f32_e32 v3, v10, v159
	v_fma_f32 v4, v11, v159, -v4
	ds_write2_b64 v51, v[5:6], v[3:4] offset0:122 offset1:185
	v_add_co_u32_e32 v83, vcc, s1, v200
	s_movk_i32 s1, 0x7c
	s_waitcnt vmcnt(7)
	v_mul_f32_e32 v3, v29, v156
	v_mul_f32_e32 v4, v28, v156
	v_fmac_f32_e32 v3, v28, v155
	v_fma_f32 v4, v29, v155, -v4
	s_waitcnt vmcnt(5)
	v_mul_f32_e32 v5, v33, v150
	v_mul_f32_e32 v6, v32, v150
	v_fmac_f32_e32 v5, v32, v149
	s_waitcnt vmcnt(3)
	v_mul_f32_e32 v7, v35, v145
	v_mul_f32_e32 v8, v34, v145
	v_fmac_f32_e32 v7, v34, v144
	v_fma_f32 v8, v35, v144, -v8
	ds_write2_b64 v53, v[3:4], v[7:8] offset0:47 offset1:110
	v_fma_f32 v6, v33, v149, -v6
	s_waitcnt vmcnt(2)
	v_mul_f32_e32 v3, v37, v141
	v_mul_f32_e32 v4, v36, v141
	v_fmac_f32_e32 v3, v36, v140
	v_fma_f32 v4, v37, v140, -v4
	ds_write2_b64 v54, v[5:6], v[3:4] offset0:120 offset1:183
	s_waitcnt vmcnt(0)
	v_mul_f32_e32 v3, v39, v143
	v_mul_f32_e32 v4, v38, v143
	v_fmac_f32_e32 v3, v38, v142
	v_fma_f32 v4, v39, v142, -v4
	ds_write_b64 v199, v[3:4] offset:9576
	s_waitcnt lgkmcnt(0)
	; wave barrier
	s_waitcnt lgkmcnt(0)
	ds_read2_b64 v[3:6], v199 offset1:63
	ds_read2_b64 v[7:10], v0 offset0:118 offset1:181
	ds_read2_b64 v[11:14], v199 offset0:126 offset1:189
	;; [unrolled: 1-line block ×9, first 2 shown]
	s_waitcnt lgkmcnt(0)
	v_sub_f32_e32 v45, v3, v7
	v_sub_f32_e32 v46, v4, v8
	;; [unrolled: 1-line block ×4, first 2 shown]
	v_fma_f32 v43, v3, 2.0, -v45
	v_fma_f32 v44, v4, 2.0, -v46
	;; [unrolled: 1-line block ×4, first 2 shown]
	v_sub_f32_e32 v49, v11, v15
	v_sub_f32_e32 v50, v12, v16
	v_lshlrev_b32_e32 v3, 4, v78
	v_fma_f32 v47, v11, 2.0, -v49
	v_fma_f32 v48, v12, 2.0, -v50
	v_sub_f32_e32 v11, v13, v17
	v_sub_f32_e32 v12, v14, v18
	; wave barrier
	ds_write_b128 v202, v[43:46]
	buffer_store_dword v3, off, s[20:23], 0 ; 4-byte Folded Spill
	ds_write_b128 v3, v[5:8]
	v_lshlrev_b32_e32 v3, 4, v243
	v_fma_f32 v9, v13, 2.0, -v11
	v_fma_f32 v10, v14, 2.0, -v12
	v_sub_f32_e32 v15, v19, v23
	v_sub_f32_e32 v16, v20, v24
	buffer_store_dword v3, off, s[20:23], 0 offset:4 ; 4-byte Folded Spill
	ds_write_b128 v3, v[47:50]
	v_lshlrev_b32_e32 v3, 4, v79
	v_fma_f32 v13, v19, 2.0, -v15
	v_fma_f32 v14, v20, 2.0, -v16
	v_sub_f32_e32 v19, v21, v25
	v_sub_f32_e32 v20, v22, v26
	buffer_store_dword v3, off, s[20:23], 0 offset:8 ; 4-byte Folded Spill
	;; [unrolled: 7-line block ×3, first 2 shown]
	ds_write_b128 v3, v[13:16]
	v_lshlrev_b32_e32 v3, 4, v84
	v_fma_f32 v21, v27, 2.0, -v23
	v_fma_f32 v22, v28, 2.0, -v24
	v_sub_f32_e32 v27, v29, v33
	v_sub_f32_e32 v28, v30, v34
	;; [unrolled: 1-line block ×4, first 2 shown]
	buffer_store_dword v3, off, s[20:23], 0 offset:16 ; 4-byte Folded Spill
	ds_write_b128 v3, v[17:20]
	v_lshlrev_b32_e32 v3, 4, v83
	v_fma_f32 v25, v29, 2.0, -v27
	v_fma_f32 v26, v30, 2.0, -v28
	;; [unrolled: 1-line block ×4, first 2 shown]
	v_sub_f32_e32 v35, v37, v41
	v_sub_f32_e32 v36, v38, v42
	buffer_store_dword v3, off, s[20:23], 0 offset:20 ; 4-byte Folded Spill
	ds_write_b128 v3, v[21:24]
	ds_write_b128 v202, v[25:28] offset:7056
	v_lshlrev_b32_e32 v3, 3, v52
	v_and_b32_e32 v41, 1, v200
	v_fma_f32 v33, v37, 2.0, -v35
	v_fma_f32 v34, v38, 2.0, -v36
	ds_write_b128 v3, v[29:32] offset:8064
	ds_write_b128 v202, v[33:36] offset:9072
	v_lshlrev_b32_e32 v3, 3, v41
	s_waitcnt lgkmcnt(0)
	; wave barrier
	s_waitcnt lgkmcnt(0)
	global_load_dwordx2 v[134:135], v3, s[14:15]
	v_and_b32_e32 v43, 1, v80
	v_and_b32_e32 v42, 1, v78
	v_lshlrev_b32_e32 v4, 3, v43
	v_lshlrev_b32_e32 v3, 3, v42
	global_load_dword v209, v4, s[14:15] offset:4
	global_load_dwordx2 v[136:137], v4, s[14:15]
	global_load_dword v210, v3, s[14:15]
	v_and_b32_e32 v46, 1, v79
	v_lshlrev_b32_e32 v3, 3, v46
	global_load_dwordx2 v[183:184], v3, s[14:15]
	v_and_b32_e32 v47, 1, v84
	v_lshlrev_b32_e32 v3, 3, v47
	global_load_dwordx2 v[181:182], v3, s[14:15]
	;; [unrolled: 3-line block ×3, first 2 shown]
	ds_read2_b64 v[3:6], v199 offset1:63
	ds_read2_b64 v[7:10], v0 offset0:118 offset1:181
	ds_read2_b64 v[11:14], v199 offset0:126 offset1:189
	;; [unrolled: 1-line block ×7, first 2 shown]
	s_waitcnt vmcnt(6) lgkmcnt(6)
	v_mul_f32_e32 v35, v8, v135
	v_fma_f32 v35, v7, v134, -v35
	v_mul_f32_e32 v7, v7, v135
	v_fmac_f32_e32 v7, v8, v134
	s_waitcnt vmcnt(4)
	v_mul_f32_e32 v8, v10, v137
	s_waitcnt vmcnt(3)
	v_fma_f32 v8, v9, v210, -v8
	v_mul_f32_e32 v9, v9, v137
	v_fmac_f32_e32 v9, v10, v210
	s_waitcnt lgkmcnt(4)
	v_mul_f32_e32 v10, v16, v135
	v_fma_f32 v10, v15, v134, -v10
	v_mul_f32_e32 v36, v15, v135
	s_waitcnt vmcnt(2)
	v_mul_f32_e32 v15, v18, v184
	v_fma_f32 v37, v17, v183, -v15
	s_waitcnt lgkmcnt(2)
	v_mul_f32_e32 v15, v24, v135
	v_fma_f32 v39, v23, v134, -v15
	s_waitcnt vmcnt(1)
	v_mul_f32_e32 v15, v26, v182
	v_mul_f32_e32 v40, v23, v135
	v_fma_f32 v44, v25, v181, -v15
	s_waitcnt lgkmcnt(1)
	v_mul_f32_e32 v15, v28, v135
	v_fmac_f32_e32 v36, v16, v134
	v_fmac_f32_e32 v40, v24, v134
	v_fma_f32 v49, v27, v134, -v15
	v_mul_f32_e32 v50, v27, v135
	v_sub_f32_e32 v16, v4, v7
	v_sub_f32_e32 v23, v5, v8
	;; [unrolled: 1-line block ×4, first 2 shown]
	ds_read2_b64 v[7:10], v54 offset0:120 offset1:183
	s_waitcnt vmcnt(0)
	v_mul_f32_e32 v15, v30, v139
	v_fma_f32 v55, v29, v138, -v15
	s_waitcnt lgkmcnt(1)
	v_mul_f32_e32 v15, v32, v135
	v_fma_f32 v58, v31, v134, -v15
	v_mul_f32_e32 v15, v34, v209
	v_fma_f32 v60, v33, v136, -v15
	v_mul_f32_e32 v61, v33, v209
	v_sub_f32_e32 v33, v21, v44
	s_waitcnt lgkmcnt(0)
	v_sub_f32_e32 v44, v9, v60
	v_mul_f32_e32 v38, v17, v184
	v_mul_f32_e32 v45, v25, v182
	v_sub_f32_e32 v15, v3, v35
	v_fma_f32 v72, v9, 2.0, -v44
	v_and_or_b32 v9, v52, s1, v41
	v_fmac_f32_e32 v38, v18, v183
	v_fmac_f32_e32 v45, v26, v181
	;; [unrolled: 1-line block ×3, first 2 shown]
	v_fma_f32 v17, v3, 2.0, -v15
	v_fma_f32 v18, v4, 2.0, -v16
	v_lshlrev_b32_e32 v9, 3, v9
	v_fma_f32 v25, v5, 2.0, -v23
	v_fma_f32 v26, v6, 2.0, -v24
	ds_read2_b64 v[3:6], v51 offset0:122 offset1:185
	v_sub_f32_e32 v34, v22, v45
	v_sub_f32_e32 v45, v10, v61
	s_waitcnt lgkmcnt(0)
	; wave barrier
	s_waitcnt lgkmcnt(0)
	buffer_store_dword v9, off, s[20:23], 0 offset:24 ; 4-byte Folded Spill
	ds_write2_b64 v9, v[17:18], v[15:16] offset1:2
	v_lshlrev_b32_e32 v9, 1, v78
	v_fma_f32 v73, v10, 2.0, -v45
	v_lshlrev_b32_e32 v10, 1, v243
	v_and_or_b32 v9, v9, s0, v42
	s_movk_i32 s0, 0x1fc
	v_fmac_f32_e32 v50, v28, v134
	v_sub_f32_e32 v28, v12, v36
	v_and_or_b32 v10, v10, s0, v41
	v_mul_f32_e32 v57, v29, v139
	v_fma_f32 v11, v11, 2.0, -v27
	v_fma_f32 v12, v12, 2.0, -v28
	v_lshlrev_b32_e32 v15, 1, v79
	v_lshlrev_b32_e32 v9, 3, v9
	v_lshlrev_b32_e32 v10, 3, v10
	v_fmac_f32_e32 v57, v30, v138
	v_sub_f32_e32 v29, v13, v37
	v_sub_f32_e32 v30, v14, v38
	ds_write2_b64 v9, v[25:26], v[23:24] offset1:2
	buffer_store_dword v10, off, s[20:23], 0 offset:32 ; 4-byte Folded Spill
	ds_write2_b64 v10, v[11:12], v[27:28] offset1:2
	v_and_or_b32 v10, v15, s0, v46
	v_mul_f32_e32 v59, v31, v135
	v_fma_f32 v13, v13, 2.0, -v29
	v_fma_f32 v14, v14, 2.0, -v30
	v_lshlrev_b32_e32 v16, 1, v85
	buffer_store_dword v9, off, s[20:23], 0 offset:28 ; 4-byte Folded Spill
	v_lshlrev_b32_e32 v9, 1, v84
	v_lshlrev_b32_e32 v10, 3, v10
	s_movk_i32 s0, 0x3fc
	s_movk_i32 s1, 0x2fc
	v_fmac_f32_e32 v59, v32, v134
	v_sub_f32_e32 v31, v19, v39
	v_sub_f32_e32 v32, v20, v40
	buffer_store_dword v10, off, s[20:23], 0 offset:36 ; 4-byte Folded Spill
	ds_write2_b64 v10, v[13:14], v[29:30] offset1:2
	v_and_or_b32 v10, v16, s0, v41
	v_and_or_b32 v9, v9, s1, v47
	v_fma_f32 v19, v19, 2.0, -v31
	v_fma_f32 v20, v20, 2.0, -v32
	;; [unrolled: 1-line block ×4, first 2 shown]
	v_lshlrev_b32_e32 v17, 1, v83
	v_lshlrev_b32_e32 v10, 3, v10
	;; [unrolled: 1-line block ×3, first 2 shown]
	v_sub_f32_e32 v35, v3, v49
	v_sub_f32_e32 v36, v4, v50
	ds_write2_b64 v10, v[19:20], v[31:32] offset1:2
	buffer_store_dword v9, off, s[20:23], 0 offset:44 ; 4-byte Folded Spill
	ds_write2_b64 v9, v[21:22], v[33:34] offset1:2
	v_and_or_b32 v9, v17, s0, v41
	v_fma_f32 v3, v3, 2.0, -v35
	v_fma_f32 v4, v4, 2.0, -v36
	v_lshlrev_b32_e32 v18, 1, v81
	v_lshlrev_b32_e32 v9, 3, v9
	v_sub_f32_e32 v37, v5, v55
	v_sub_f32_e32 v38, v6, v57
	ds_write2_b64 v9, v[3:4], v[35:36] offset1:2
	v_and_or_b32 v3, v18, s0, v48
	v_fma_f32 v5, v5, 2.0, -v37
	v_fma_f32 v6, v6, 2.0, -v38
	v_lshlrev_b32_e32 v3, 3, v3
	s_movk_i32 s0, 0x7fc
	v_sub_f32_e32 v39, v7, v58
	v_sub_f32_e32 v40, v8, v59
	buffer_store_dword v3, off, s[20:23], 0 offset:52 ; 4-byte Folded Spill
	ds_write2_b64 v3, v[5:6], v[37:38] offset1:2
	v_and_or_b32 v3, v82, s0, v41
	v_fma_f32 v7, v7, 2.0, -v39
	v_fma_f32 v8, v8, 2.0, -v40
	v_lshlrev_b32_e32 v23, 1, v80
	v_lshlrev_b32_e32 v3, 3, v3
	s_movk_i32 s0, 0x4fc
	buffer_store_dword v3, off, s[20:23], 0 offset:56 ; 4-byte Folded Spill
	ds_write2_b64 v3, v[7:8], v[39:40] offset1:2
	v_and_or_b32 v3, v23, s0, v43
	v_lshlrev_b32_e32 v3, 3, v3
	buffer_store_dword v10, off, s[20:23], 0 offset:40 ; 4-byte Folded Spill
	buffer_store_dword v9, off, s[20:23], 0 offset:48 ; 4-byte Folded Spill
	;; [unrolled: 1-line block ×3, first 2 shown]
	ds_write2_b64 v3, v[72:73], v[44:45] offset1:2
	s_waitcnt lgkmcnt(0)
	; wave barrier
	s_waitcnt lgkmcnt(0)
	ds_read2_b64 v[16:19], v199 offset1:63
	ds_read2_b64 v[20:23], v51 offset0:164 offset1:227
	ds_read2_b64 v[28:31], v2 offset0:72 offset1:135
	;; [unrolled: 1-line block ×8, first 2 shown]
	v_cmp_gt_u16_e64 s[0:1], 42, v200
                                        ; implicit-def: $vgpr46
	s_and_saveexec_b64 s[2:3], s[0:1]
	s_cbranch_execz .LBB0_3
; %bb.2:
	ds_read_b64 v[72:73], v199 offset:3024
	ds_read_b64 v[44:45], v199 offset:6384
	;; [unrolled: 1-line block ×3, first 2 shown]
.LBB0_3:
	s_or_b64 exec, exec, s[2:3]
	v_and_b32_e32 v48, 3, v200
	v_lshlrev_b32_e32 v0, 4, v48
	global_load_dwordx4 v[0:3], v0, s[14:15] offset:16
	v_and_b32_e32 v49, 3, v84
	v_and_b32_e32 v4, 3, v83
	;; [unrolled: 1-line block ×3, first 2 shown]
	v_lshlrev_b32_e32 v50, 4, v49
	global_load_dwordx2 v[185:186], v50, s[14:15] offset:16
	v_lshlrev_b32_e32 v51, 4, v4
	buffer_store_dword v4, off, s[20:23], 0 offset:64 ; 4-byte Folded Spill
	v_lshlrev_b32_e32 v4, 4, v52
	global_load_dwordx2 v[189:190], v50, s[14:15] offset:24
	global_load_dwordx2 v[187:188], v51, s[14:15] offset:16
	;; [unrolled: 1-line block ×3, first 2 shown]
	s_nop 0
	global_load_dwordx4 v[4:7], v4, s[14:15] offset:16
	s_nop 0
	global_load_dwordx2 v[193:194], v50, s[14:15] offset:20
	global_load_dword v221, v50, s[14:15] offset:28
	global_load_dwordx2 v[195:196], v51, s[14:15] offset:20
	global_load_dword v222, v51, s[14:15] offset:28
	v_and_b32_e32 v50, 3, v78
	v_lshlrev_b32_e32 v51, 4, v50
	global_load_dword v224, v51, s[14:15] offset:16
	v_and_b32_e32 v51, 3, v243
	v_lshlrev_b32_e32 v53, 4, v51
	global_load_dword v223, v53, s[14:15] offset:16
	s_waitcnt lgkmcnt(0)
	; wave barrier
	s_waitcnt vmcnt(12) lgkmcnt(0)
	v_mul_f32_e32 v53, v21, v1
	v_mul_f32_e32 v55, v29, v3
	;; [unrolled: 1-line block ×4, first 2 shown]
	v_fma_f32 v53, v20, v0, -v53
	v_fma_f32 v28, v28, v2, -v55
	v_fmac_f32_e32 v54, v21, v0
	v_add_f32_e32 v21, v53, v28
	s_waitcnt vmcnt(11)
	v_mul_f32_e32 v57, v23, v186
	v_mul_f32_e32 v58, v22, v186
	v_fmac_f32_e32 v56, v29, v2
	v_add_f32_e32 v20, v16, v53
	v_fma_f32 v16, -0.5, v21, v16
	s_waitcnt vmcnt(9)
	v_mul_f32_e32 v59, v31, v190
	v_mul_f32_e32 v60, v30, v190
	s_waitcnt vmcnt(1)
	v_fma_f32 v29, v22, v224, -v57
	v_fmac_f32_e32 v58, v23, v224
	v_sub_f32_e32 v23, v54, v56
	v_mov_b32_e32 v22, v16
	v_fmac_f32_e32 v16, 0xbf5db3d7, v23
	v_fmac_f32_e32 v22, 0x3f5db3d7, v23
	v_add_f32_e32 v23, v54, v56
	v_mul_f32_e32 v61, v25, v188
	v_mul_f32_e32 v62, v24, v188
	v_fma_f32 v30, v30, v194, -v59
	v_add_f32_e32 v21, v17, v54
	v_fma_f32 v17, -0.5, v23, v17
	v_fmac_f32_e32 v60, v31, v194
	s_waitcnt vmcnt(0)
	v_fma_f32 v31, v24, v223, -v61
	v_fmac_f32_e32 v62, v25, v223
	v_sub_f32_e32 v24, v53, v28
	v_mov_b32_e32 v23, v17
	v_add_f32_e32 v25, v29, v30
	v_mul_f32_e32 v64, v36, v192
	v_mul_f32_e32 v65, v27, v5
	;; [unrolled: 1-line block ×3, first 2 shown]
	v_fmac_f32_e32 v23, 0xbf5db3d7, v24
	v_fmac_f32_e32 v17, 0x3f5db3d7, v24
	v_add_f32_e32 v24, v18, v29
	v_fma_f32 v18, -0.5, v25, v18
	v_mul_f32_e32 v63, v37, v192
	v_fmac_f32_e32 v64, v37, v196
	v_fma_f32 v37, v26, v4, -v65
	v_fmac_f32_e32 v66, v27, v4
	v_sub_f32_e32 v25, v58, v60
	v_mov_b32_e32 v26, v18
	v_add_f32_e32 v27, v58, v60
	v_fma_f32 v36, v36, v196, -v63
	v_fmac_f32_e32 v26, 0x3f5db3d7, v25
	v_fmac_f32_e32 v18, 0xbf5db3d7, v25
	v_add_f32_e32 v25, v19, v58
	v_fmac_f32_e32 v19, -0.5, v27
	v_add_f32_e32 v20, v20, v28
	v_sub_f32_e32 v28, v29, v30
	v_mov_b32_e32 v27, v19
	v_add_f32_e32 v29, v31, v36
	v_mul_f32_e32 v68, v38, v7
	v_mul_f32_e32 v69, v33, v1
	v_fmac_f32_e32 v27, 0xbf5db3d7, v28
	v_fmac_f32_e32 v19, 0x3f5db3d7, v28
	v_add_f32_e32 v28, v12, v31
	v_fma_f32 v12, -0.5, v29, v12
	v_mul_f32_e32 v67, v39, v7
	v_mul_f32_e32 v70, v32, v1
	v_fmac_f32_e32 v68, v39, v6
	v_fma_f32 v39, v32, v0, -v69
	v_add_f32_e32 v24, v24, v30
	v_sub_f32_e32 v29, v62, v64
	v_mov_b32_e32 v30, v12
	v_add_f32_e32 v32, v62, v64
	v_fma_f32 v38, v38, v6, -v67
	v_fmac_f32_e32 v30, 0x3f5db3d7, v29
	v_fmac_f32_e32 v12, 0xbf5db3d7, v29
	v_add_f32_e32 v29, v13, v62
	v_fma_f32 v13, -0.5, v32, v13
	v_fmac_f32_e32 v70, v33, v0
	v_sub_f32_e32 v32, v31, v36
	v_mov_b32_e32 v31, v13
	v_add_f32_e32 v33, v37, v38
	v_mul_f32_e32 v75, v35, v193
	v_mul_f32_e32 v76, v34, v193
	v_fmac_f32_e32 v31, 0xbf5db3d7, v32
	v_fmac_f32_e32 v13, 0x3f5db3d7, v32
	v_add_f32_e32 v32, v14, v37
	v_fma_f32 v14, -0.5, v33, v14
	v_mul_f32_e32 v71, v41, v3
	v_fma_f32 v55, v34, v185, -v75
	v_fmac_f32_e32 v76, v35, v185
	v_sub_f32_e32 v33, v66, v68
	v_mov_b32_e32 v34, v14
	v_add_f32_e32 v35, v66, v68
	v_mul_f32_e32 v74, v40, v3
	v_fma_f32 v40, v40, v2, -v71
	v_fmac_f32_e32 v34, 0x3f5db3d7, v33
	v_fmac_f32_e32 v14, 0xbf5db3d7, v33
	v_add_f32_e32 v33, v15, v66
	v_fmac_f32_e32 v15, -0.5, v35
	v_add_f32_e32 v28, v28, v36
	v_sub_f32_e32 v36, v37, v38
	v_mov_b32_e32 v35, v15
	v_add_f32_e32 v37, v39, v40
	v_fmac_f32_e32 v74, v41, v2
	v_fmac_f32_e32 v35, 0xbf5db3d7, v36
	;; [unrolled: 1-line block ×3, first 2 shown]
	v_add_f32_e32 v36, v8, v39
	v_fma_f32 v8, -0.5, v37, v8
	v_mul_f32_e32 v77, v43, v221
	v_add_f32_e32 v32, v32, v38
	v_sub_f32_e32 v37, v70, v74
	v_mov_b32_e32 v38, v8
	v_add_f32_e32 v41, v70, v74
	v_fma_f32 v57, v42, v189, -v77
	v_fmac_f32_e32 v38, 0x3f5db3d7, v37
	v_fmac_f32_e32 v8, 0xbf5db3d7, v37
	v_add_f32_e32 v37, v9, v70
	v_fma_f32 v9, -0.5, v41, v9
	v_mul_f32_e32 v86, v42, v221
	v_add_f32_e32 v36, v36, v40
	v_sub_f32_e32 v40, v39, v40
	v_mov_b32_e32 v39, v9
	v_add_f32_e32 v41, v55, v57
	v_fmac_f32_e32 v86, v43, v189
	v_fmac_f32_e32 v39, 0xbf5db3d7, v40
	;; [unrolled: 1-line block ×3, first 2 shown]
	v_add_f32_e32 v40, v10, v55
	v_fma_f32 v10, -0.5, v41, v10
	v_sub_f32_e32 v41, v76, v86
	v_mov_b32_e32 v42, v10
	v_add_f32_e32 v43, v76, v86
	v_mul_f32_e32 v87, v45, v195
	v_mul_f32_e32 v88, v44, v195
	;; [unrolled: 1-line block ×3, first 2 shown]
	v_fmac_f32_e32 v42, 0x3f5db3d7, v41
	v_fmac_f32_e32 v10, 0xbf5db3d7, v41
	v_add_f32_e32 v41, v11, v76
	v_fmac_f32_e32 v11, -0.5, v43
	v_mul_f32_e32 v90, v46, v222
	v_fma_f32 v44, v44, v187, -v87
	v_fmac_f32_e32 v88, v45, v187
	v_fma_f32 v45, v46, v191, -v89
	v_sub_f32_e32 v46, v55, v57
	v_mov_b32_e32 v43, v11
	v_fmac_f32_e32 v43, 0xbf5db3d7, v46
	v_fmac_f32_e32 v11, 0x3f5db3d7, v46
	v_add_f32_e32 v46, v72, v44
	v_add_f32_e32 v37, v37, v74
	v_add_f32_e32 v74, v46, v45
	v_add_f32_e32 v46, v44, v45
	v_fmac_f32_e32 v90, v47, v191
	v_fmac_f32_e32 v72, -0.5, v46
	v_sub_f32_e32 v46, v88, v90
	v_mov_b32_e32 v76, v72
	v_fmac_f32_e32 v76, 0x3f5db3d7, v46
	v_fmac_f32_e32 v72, 0xbf5db3d7, v46
	v_add_f32_e32 v46, v73, v88
	v_add_f32_e32 v75, v46, v90
	;; [unrolled: 1-line block ×3, first 2 shown]
	v_fmac_f32_e32 v73, -0.5, v46
	v_sub_f32_e32 v44, v44, v45
	v_mov_b32_e32 v77, v73
	v_fmac_f32_e32 v77, 0xbf5db3d7, v44
	v_fmac_f32_e32 v73, 0x3f5db3d7, v44
	v_lshrrev_b32_e32 v44, 2, v200
	v_mul_u32_u24_e32 v44, 12, v44
	v_or_b32_e32 v44, v44, v48
	v_add_f32_e32 v21, v21, v56
	v_lshlrev_b32_e32 v255, 3, v44
	ds_write2_b64 v255, v[20:21], v[22:23] offset1:4
	ds_write_b64 v255, v[16:17] offset:64
	v_lshrrev_b32_e32 v16, 2, v78
	v_mul_u32_u24_e32 v16, 12, v16
	v_or_b32_e32 v16, v16, v50
	v_lshlrev_b32_e32 v231, 3, v16
	v_lshrrev_b32_e32 v16, 2, v243
	v_mul_u32_u24_e32 v16, 12, v16
	v_or_b32_e32 v16, v16, v51
	v_add_f32_e32 v25, v25, v60
	v_add_f32_e32 v29, v29, v64
	v_lshlrev_b32_e32 v207, 3, v16
	ds_write2_b64 v231, v[24:25], v[26:27] offset1:4
	ds_write_b64 v231, v[18:19] offset:64
	ds_write2_b64 v207, v[28:29], v[30:31] offset1:4
	ds_write_b64 v207, v[12:13] offset:64
	v_lshrrev_b32_e32 v12, 2, v79
	v_mul_u32_u24_e32 v12, 12, v12
	v_or_b32_e32 v12, v12, v52
	v_lshlrev_b32_e32 v208, 3, v12
	v_lshrrev_b32_e32 v12, 2, v85
	v_mul_u32_u24_e32 v12, 12, v12
	v_or_b32_e32 v12, v12, v48
	v_add_f32_e32 v33, v33, v68
	v_lshlrev_b32_e32 v229, 3, v12
	ds_write2_b64 v208, v[32:33], v[34:35] offset1:4
	ds_write_b64 v208, v[14:15] offset:64
	ds_write2_b64 v229, v[36:37], v[38:39] offset1:4
	ds_write_b64 v229, v[8:9] offset:64
	v_lshrrev_b32_e32 v8, 2, v84
	v_mul_u32_u24_e32 v8, 12, v8
	v_or_b32_e32 v8, v8, v49
	v_add_f32_e32 v40, v40, v57
	v_add_f32_e32 v41, v41, v86
	v_lshlrev_b32_e32 v230, 3, v8
	v_lshrrev_b32_e32 v8, 2, v83
	ds_write2_b64 v230, v[40:41], v[42:43] offset1:4
	ds_write_b64 v230, v[10:11] offset:64
	buffer_store_dword v8, off, s[20:23], 0 offset:68 ; 4-byte Folded Spill
	s_and_saveexec_b64 s[2:3], s[0:1]
	s_cbranch_execz .LBB0_5
; %bb.4:
	v_lshrrev_b32_e32 v8, 2, v83
	v_mul_u32_u24_e32 v8, 12, v8
	v_and_b32_e32 v9, 3, v83
	v_or_b32_e32 v8, v8, v9
	v_lshlrev_b32_e32 v8, 3, v8
	ds_write2_b64 v8, v[74:75], v[76:77] offset1:4
	ds_write_b64 v8, v[72:73] offset:64
.LBB0_5:
	s_or_b64 exec, exec, s[2:3]
	v_add_u32_e32 v8, 0x800, v199
	s_waitcnt lgkmcnt(0)
	; wave barrier
	s_waitcnt lgkmcnt(0)
	ds_read2_b64 v[56:59], v8 offset0:164 offset1:227
	v_add_u32_e32 v8, 0x1800, v199
	v_add_u32_e32 v9, 0x1c00, v199
	ds_read2_b64 v[44:47], v199 offset1:63
	ds_read2_b64 v[60:63], v8 offset0:72 offset1:135
	ds_read2_b64 v[40:43], v199 offset0:126 offset1:189
	v_add_u32_e32 v8, 0x1000, v199
	ds_read2_b64 v[68:71], v9 offset0:70 offset1:133
	v_add_u32_e32 v9, 0x400, v199
	ds_read2_b64 v[64:67], v8 offset0:34 offset1:97
	ds_read2_b64 v[36:39], v9 offset0:124 offset1:187
	;; [unrolled: 1-line block ×3, first 2 shown]
	v_add_u32_e32 v8, 0x2000, v199
	ds_read2_b64 v[52:55], v8 offset0:68 offset1:131
	s_and_saveexec_b64 s[2:3], s[0:1]
	s_cbranch_execz .LBB0_7
; %bb.6:
	ds_read_b64 v[74:75], v199 offset:3024
	ds_read_b64 v[76:77], v199 offset:6384
	;; [unrolled: 1-line block ×3, first 2 shown]
.LBB0_7:
	s_or_b64 exec, exec, s[2:3]
	s_movk_i32 s2, 0xab
	v_mul_lo_u16_sdwa v8, v200, s2 dst_sel:DWORD dst_unused:UNUSED_PAD src0_sel:BYTE_0 src1_sel:DWORD
	v_mul_lo_u16_sdwa v9, v78, s2 dst_sel:DWORD dst_unused:UNUSED_PAD src0_sel:BYTE_0 src1_sel:DWORD
	;; [unrolled: 1-line block ×4, first 2 shown]
	s_mov_b32 s2, 0xaaab
	v_mul_u32_u24_sdwa v24, v85, s2 dst_sel:DWORD dst_unused:UNUSED_PAD src0_sel:WORD_0 src1_sel:DWORD
	v_lshrrev_b32_e32 v95, 19, v24
	v_lshrrev_b16_e32 v87, 11, v8
	v_lshrrev_b16_e32 v89, 11, v9
	;; [unrolled: 1-line block ×3, first 2 shown]
	v_mul_lo_u16_e32 v24, 12, v95
	v_mul_lo_u16_e32 v8, 12, v87
	;; [unrolled: 1-line block ×4, first 2 shown]
	v_sub_u16_e32 v96, v85, v24
	v_sub_u16_e32 v8, v200, v8
	;; [unrolled: 1-line block ×4, first 2 shown]
	v_lshlrev_b16_e32 v24, 4, v96
	v_and_b32_e32 v88, 0xff, v8
	v_and_b32_e32 v90, 0xff, v9
	;; [unrolled: 1-line block ×3, first 2 shown]
	v_lshrrev_b16_e32 v93, 11, v17
	v_mov_b32_e32 v33, s15
	v_add_co_u32_e32 v24, vcc, s14, v24
	v_lshlrev_b32_e32 v8, 4, v88
	v_lshlrev_b32_e32 v9, 4, v90
	;; [unrolled: 1-line block ×3, first 2 shown]
	v_mul_lo_u16_e32 v17, 12, v93
	v_addc_co_u32_e32 v25, vcc, 0, v33, vcc
	v_mul_u32_u24_sdwa v28, v84, s2 dst_sel:DWORD dst_unused:UNUSED_PAD src0_sel:WORD_0 src1_sel:DWORD
	global_load_dwordx4 v[12:15], v8, s[14:15] offset:80
	s_nop 0
	global_load_dwordx4 v[8:11], v9, s[14:15] offset:80
	v_lshrrev_b32_e32 v97, 19, v28
	global_load_dwordx4 v[20:23], v16, s[14:15] offset:80
	v_mul_lo_u16_e32 v28, 12, v97
	global_load_dwordx4 v[24:27], v[24:25], off offset:80
	v_sub_u16_e32 v16, v79, v17
	v_and_b32_e32 v94, 0xff, v16
	v_lshlrev_b32_e32 v16, 4, v94
	v_sub_u16_e32 v98, v84, v28
	global_load_dwordx4 v[16:19], v16, s[14:15] offset:80
	v_lshlrev_b16_e32 v28, 4, v98
	v_add_co_u32_e32 v28, vcc, s14, v28
	v_addc_co_u32_e32 v29, vcc, 0, v33, vcc
	global_load_dwordx4 v[28:31], v[28:29], off offset:80
	v_mul_u32_u24_sdwa v32, v83, s2 dst_sel:DWORD dst_unused:UNUSED_PAD src0_sel:WORD_0 src1_sel:DWORD
	v_lshrrev_b32_e32 v99, 19, v32
	v_mul_lo_u16_e32 v32, 12, v99
	v_sub_u16_e32 v100, v83, v32
	v_lshlrev_b16_e32 v32, 4, v100
	v_add_co_u32_e32 v32, vcc, s14, v32
	v_addc_co_u32_e32 v33, vcc, 0, v33, vcc
	global_load_dwordx4 v[32:35], v[32:33], off offset:80
	v_mul_lo_u16_e32 v87, 36, v87
	v_and_b32_e32 v87, 0xfc, v87
	v_add_lshl_u32 v232, v87, v88, 3
	s_waitcnt lgkmcnt(0)
	; wave barrier
	s_waitcnt lgkmcnt(0)
	v_mad_legacy_u16 v235, v99, 36, v100
	s_waitcnt vmcnt(6)
	v_mul_f32_e32 v84, v56, v13
	v_mul_f32_e32 v85, v61, v15
	s_waitcnt vmcnt(5)
	v_mul_f32_e32 v101, v59, v9
	v_mul_f32_e32 v83, v57, v13
	;; [unrolled: 1-line block ×4, first 2 shown]
	v_fmac_f32_e32 v84, v57, v12
	v_fma_f32 v57, v60, v14, -v85
	v_fma_f32 v60, v58, v8, -v101
	v_mul_f32_e32 v103, v63, v11
	s_waitcnt vmcnt(2)
	v_mul_f32_e32 v58, v71, v19
	v_mul_f32_e32 v106, v64, v21
	;; [unrolled: 1-line block ×3, first 2 shown]
	v_fma_f32 v85, v70, v18, -v58
	v_mul_f32_e32 v58, v49, v25
	v_mul_f32_e32 v105, v65, v21
	v_fma_f32 v56, v56, v12, -v83
	v_fmac_f32_e32 v102, v59, v8
	v_fma_f32 v59, v62, v10, -v103
	v_fmac_f32_e32 v106, v65, v20
	v_fma_f32 v65, v68, v22, -v107
	v_fma_f32 v101, v48, v24, -v58
	v_mul_f32_e32 v103, v48, v25
	v_mul_f32_e32 v48, v53, v27
	v_mul_f32_e32 v107, v52, v27
	v_mul_f32_e32 v108, v68, v23
	v_mul_f32_e32 v109, v67, v17
	v_fma_f32 v83, v64, v20, -v105
	v_fma_f32 v105, v52, v26, -v48
	v_fmac_f32_e32 v107, v53, v26
	s_waitcnt vmcnt(1)
	v_mul_f32_e32 v48, v51, v29
	v_add_f32_e32 v53, v56, v57
	v_fmac_f32_e32 v86, v61, v14
	v_fmac_f32_e32 v108, v69, v22
	v_fma_f32 v69, v66, v16, -v109
	v_fma_f32 v109, v50, v28, -v48
	v_mul_f32_e32 v48, v55, v31
	v_mul_f32_e32 v113, v54, v31
	v_add_f32_e32 v52, v44, v56
	v_fma_f32 v44, -0.5, v53, v44
	v_fma_f32 v112, v54, v30, -v48
	v_fmac_f32_e32 v113, v55, v30
	v_sub_f32_e32 v53, v84, v86
	v_mov_b32_e32 v54, v44
	v_add_f32_e32 v55, v84, v86
	v_fmac_f32_e32 v54, 0x3f5db3d7, v53
	v_fmac_f32_e32 v44, 0xbf5db3d7, v53
	v_add_f32_e32 v53, v45, v84
	v_fma_f32 v45, -0.5, v55, v45
	v_mul_f32_e32 v104, v62, v11
	v_add_f32_e32 v52, v52, v57
	v_sub_f32_e32 v56, v56, v57
	v_mov_b32_e32 v55, v45
	v_add_f32_e32 v57, v60, v59
	v_fmac_f32_e32 v104, v63, v10
	v_fmac_f32_e32 v55, 0xbf5db3d7, v56
	;; [unrolled: 1-line block ×3, first 2 shown]
	v_add_f32_e32 v56, v46, v60
	v_fma_f32 v46, -0.5, v57, v46
	v_sub_f32_e32 v57, v102, v104
	v_mov_b32_e32 v58, v46
	v_add_f32_e32 v61, v102, v104
	v_fmac_f32_e32 v58, 0x3f5db3d7, v57
	v_fmac_f32_e32 v46, 0xbf5db3d7, v57
	v_add_f32_e32 v57, v47, v102
	v_fmac_f32_e32 v47, -0.5, v61
	v_add_f32_e32 v61, v83, v65
	v_add_f32_e32 v56, v56, v59
	v_sub_f32_e32 v60, v60, v59
	v_mov_b32_e32 v59, v47
	v_fma_f32 v62, -0.5, v61, v40
	v_fmac_f32_e32 v59, 0xbf5db3d7, v60
	v_fmac_f32_e32 v47, 0x3f5db3d7, v60
	v_add_f32_e32 v60, v40, v83
	v_sub_f32_e32 v40, v106, v108
	v_mov_b32_e32 v64, v62
	v_fmac_f32_e32 v64, 0x3f5db3d7, v40
	v_fmac_f32_e32 v62, 0xbf5db3d7, v40
	v_add_f32_e32 v40, v41, v106
	v_add_f32_e32 v61, v40, v108
	;; [unrolled: 1-line block ×3, first 2 shown]
	v_fma_f32 v63, -0.5, v40, v41
	v_add_f32_e32 v60, v60, v65
	v_sub_f32_e32 v40, v83, v65
	v_mov_b32_e32 v65, v63
	v_fmac_f32_e32 v65, 0xbf5db3d7, v40
	v_fmac_f32_e32 v63, 0x3f5db3d7, v40
	v_add_f32_e32 v40, v42, v69
	v_mul_f32_e32 v110, v66, v17
	v_mul_f32_e32 v70, v70, v19
	v_add_f32_e32 v66, v40, v85
	v_add_f32_e32 v40, v69, v85
	v_fmac_f32_e32 v110, v67, v16
	v_fmac_f32_e32 v70, v71, v18
	v_fma_f32 v42, -0.5, v40, v42
	v_sub_f32_e32 v40, v110, v70
	v_mov_b32_e32 v68, v42
	v_fmac_f32_e32 v68, 0x3f5db3d7, v40
	v_fmac_f32_e32 v42, 0xbf5db3d7, v40
	v_add_f32_e32 v40, v43, v110
	v_add_f32_e32 v67, v40, v70
	;; [unrolled: 1-line block ×3, first 2 shown]
	v_fmac_f32_e32 v43, -0.5, v40
	v_sub_f32_e32 v40, v69, v85
	v_mov_b32_e32 v69, v43
	v_fmac_f32_e32 v69, 0xbf5db3d7, v40
	v_fmac_f32_e32 v43, 0x3f5db3d7, v40
	v_add_f32_e32 v40, v36, v101
	v_mul_f32_e32 v111, v50, v29
	s_waitcnt vmcnt(0)
	v_mul_f32_e32 v50, v73, v35
	v_add_f32_e32 v70, v40, v105
	v_add_f32_e32 v40, v101, v105
	v_fmac_f32_e32 v103, v49, v24
	v_fmac_f32_e32 v111, v51, v28
	v_mul_f32_e32 v48, v77, v33
	v_fma_f32 v50, v72, v34, -v50
	v_mul_f32_e32 v51, v72, v35
	v_fma_f32 v72, -0.5, v40, v36
	v_fma_f32 v48, v76, v32, -v48
	v_mul_f32_e32 v49, v76, v33
	v_sub_f32_e32 v36, v103, v107
	v_mov_b32_e32 v76, v72
	v_fmac_f32_e32 v76, 0x3f5db3d7, v36
	v_fmac_f32_e32 v72, 0xbf5db3d7, v36
	v_add_f32_e32 v36, v37, v103
	v_add_f32_e32 v71, v36, v107
	v_add_f32_e32 v36, v103, v107
	v_fmac_f32_e32 v51, v73, v34
	v_fma_f32 v73, -0.5, v36, v37
	v_fmac_f32_e32 v49, v77, v32
	v_sub_f32_e32 v36, v101, v105
	v_mov_b32_e32 v77, v73
	v_fmac_f32_e32 v77, 0xbf5db3d7, v36
	v_fmac_f32_e32 v73, 0x3f5db3d7, v36
	v_add_f32_e32 v36, v38, v109
	v_add_f32_e32 v83, v36, v112
	;; [unrolled: 1-line block ×3, first 2 shown]
	v_fma_f32 v38, -0.5, v36, v38
	v_sub_f32_e32 v36, v111, v113
	v_mov_b32_e32 v85, v38
	v_add_f32_e32 v53, v53, v86
	v_fmac_f32_e32 v85, 0x3f5db3d7, v36
	v_fmac_f32_e32 v38, 0xbf5db3d7, v36
	v_add_f32_e32 v36, v39, v111
	v_add_f32_e32 v84, v36, v113
	;; [unrolled: 1-line block ×3, first 2 shown]
	ds_write2_b64 v232, v[52:53], v[54:55] offset1:12
	ds_write_b64 v232, v[44:45] offset:192
	v_mul_u32_u24_e32 v44, 36, v89
	v_fmac_f32_e32 v39, -0.5, v36
	v_add_lshl_u32 v233, v44, v90, 3
	v_mul_u32_u24_e32 v44, 36, v91
	v_sub_f32_e32 v36, v109, v112
	v_mov_b32_e32 v86, v39
	v_add_lshl_u32 v234, v44, v92, 3
	v_mul_u32_u24_e32 v44, 36, v93
	v_add_f32_e32 v57, v57, v104
	v_fmac_f32_e32 v86, 0xbf5db3d7, v36
	v_fmac_f32_e32 v39, 0x3f5db3d7, v36
	v_add_f32_e32 v36, v48, v50
	v_add_f32_e32 v37, v49, v51
	v_add_lshl_u32 v236, v44, v94, 3
	v_fma_f32 v36, -0.5, v36, v74
	v_fma_f32 v37, -0.5, v37, v75
	ds_write2_b64 v233, v[56:57], v[58:59] offset1:12
	ds_write_b64 v233, v[46:47] offset:192
	ds_write2_b64 v234, v[60:61], v[64:65] offset1:12
	ds_write_b64 v234, v[62:63] offset:192
	;; [unrolled: 2-line block ×3, first 2 shown]
	v_mad_legacy_u16 v42, v95, 36, v96
	v_sub_f32_e32 v40, v49, v51
	v_mov_b32_e32 v197, v36
	v_sub_f32_e32 v41, v48, v50
	v_mov_b32_e32 v198, v37
	v_lshlrev_b32_e32 v237, 3, v42
	v_mad_legacy_u16 v42, v97, 36, v98
	v_fmac_f32_e32 v197, 0xbf5db3d7, v40
	v_fmac_f32_e32 v198, 0x3f5db3d7, v41
	v_lshlrev_b32_e32 v238, 3, v42
	ds_write2_b64 v237, v[70:71], v[76:77] offset1:12
	ds_write_b64 v237, v[72:73] offset:192
	ds_write2_b64 v238, v[83:84], v[85:86] offset1:12
	ds_write_b64 v238, v[38:39] offset:192
	s_and_saveexec_b64 s[2:3], s[0:1]
	s_cbranch_execz .LBB0_9
; %bb.8:
	v_add_f32_e32 v38, v75, v49
	v_mul_f32_e32 v40, 0x3f5db3d7, v40
	v_mul_f32_e32 v41, 0x3f5db3d7, v41
	v_add_f32_e32 v39, v38, v51
	v_add_f32_e32 v38, v74, v48
	;; [unrolled: 1-line block ×3, first 2 shown]
	v_sub_f32_e32 v37, v37, v41
	v_add_f32_e32 v36, v40, v36
	v_lshlrev_b32_e32 v40, 3, v235
	ds_write2_b64 v40, v[38:39], v[36:37] offset1:12
	ds_write_b64 v40, v[197:198] offset:192
.LBB0_9:
	s_or_b64 exec, exec, s[2:3]
	s_movk_i32 s2, 0xffdc
	v_add_co_u32_e32 v36, vcc, s2, v200
	v_addc_co_u32_e64 v37, s[2:3], 0, -1, vcc
	v_cmp_gt_u16_e32 vcc, 36, v200
	v_mov_b32_e32 v60, 57
	v_cndmask_b32_e64 v69, v37, 0, vcc
	v_cndmask_b32_e32 v68, v36, v200, vcc
	v_mul_lo_u16_sdwa v44, v78, v60 dst_sel:DWORD dst_unused:UNUSED_PAD src0_sel:BYTE_0 src1_sel:DWORD
	v_lshlrev_b64 v[36:37], 5, v[68:69]
	v_lshrrev_b16_e32 v103, 11, v44
	v_mul_lo_u16_e32 v44, 36, v103
	v_mul_lo_u16_sdwa v52, v243, v60 dst_sel:DWORD dst_unused:UNUSED_PAD src0_sel:BYTE_0 src1_sel:DWORD
	v_mov_b32_e32 v38, s15
	v_add_co_u32_e32 v36, vcc, s14, v36
	v_sub_u16_e32 v44, v78, v44
	v_lshrrev_b16_e32 v123, 11, v52
	v_addc_co_u32_e32 v37, vcc, v38, v37, vcc
	v_and_b32_e32 v122, 0xff, v44
	v_mul_lo_u16_e32 v52, 36, v123
	s_waitcnt lgkmcnt(0)
	; wave barrier
	s_waitcnt lgkmcnt(0)
	global_load_dwordx4 v[40:43], v[36:37], off offset:272
	s_nop 0
	global_load_dwordx4 v[36:39], v[36:37], off offset:288
	v_lshlrev_b32_e32 v44, 5, v122
	v_sub_u16_e32 v52, v243, v52
	global_load_dwordx4 v[48:51], v44, s[14:15] offset:272
	s_nop 0
	global_load_dwordx4 v[44:47], v44, s[14:15] offset:288
	v_and_b32_e32 v124, 0xff, v52
	v_mul_lo_u16_sdwa v60, v79, v60 dst_sel:DWORD dst_unused:UNUSED_PAD src0_sel:BYTE_0 src1_sel:DWORD
	v_lshlrev_b32_e32 v52, 5, v124
	v_lshrrev_b16_e32 v125, 11, v60
	global_load_dwordx4 v[56:59], v52, s[14:15] offset:272
	s_nop 0
	global_load_dwordx4 v[52:55], v52, s[14:15] offset:288
	v_mul_lo_u16_e32 v60, 36, v125
	v_sub_u16_e32 v60, v79, v60
	v_and_b32_e32 v79, 0xff, v60
	v_lshlrev_b32_e32 v60, 5, v79
	global_load_dwordx4 v[64:67], v60, s[14:15] offset:272
	s_nop 0
	global_load_dwordx4 v[60:63], v60, s[14:15] offset:288
	v_add_u32_e32 v73, 0x400, v199
	v_add_u32_e32 v77, 0xc00, v199
	ds_read2_b64 v[69:72], v199 offset1:63
	v_add_u32_e32 v201, 0x1400, v199
	v_add_u32_e32 v78, 0x1c00, v199
	ds_read2_b64 v[106:109], v199 offset0:126 offset1:189
	v_add_u32_e32 v126, 0x800, v199
	v_add_u32_e32 v203, 0x1000, v199
	;; [unrolled: 1-line block ×4, first 2 shown]
	ds_read2_b64 v[73:76], v73 offset0:124 offset1:187
	ds_read2_b64 v[83:86], v77 offset0:120 offset1:183
	;; [unrolled: 1-line block ×8, first 2 shown]
	v_cmp_lt_u16_e32 vcc, 35, v200
	s_waitcnt lgkmcnt(0)
	; wave barrier
	s_waitcnt lgkmcnt(0)
	s_movk_i32 s16, 0x1000
	v_cmp_gt_u16_e64 s[2:3], 54, v200
	s_waitcnt vmcnt(7)
	v_mul_f32_e32 v77, v74, v41
	v_mul_f32_e32 v104, v73, v41
	s_waitcnt vmcnt(6)
	v_mul_f32_e32 v121, v91, v39
	v_fma_f32 v127, v73, v40, -v77
	s_waitcnt vmcnt(5)
	v_mul_f32_e32 v73, v76, v49
	v_mul_f32_e32 v120, v92, v39
	v_fmac_f32_e32 v121, v92, v38
	s_waitcnt vmcnt(4)
	v_mul_f32_e32 v129, v89, v45
	v_fma_f32 v92, v75, v48, -v73
	v_mul_f32_e32 v73, v94, v47
	v_mul_f32_e32 v78, v84, v43
	;; [unrolled: 1-line block ×5, first 2 shown]
	v_fmac_f32_e32 v129, v90, v44
	v_fma_f32 v90, v93, v46, -v73
	s_waitcnt vmcnt(3)
	v_mul_f32_e32 v73, v96, v57
	v_fmac_f32_e32 v104, v74, v40
	v_fma_f32 v128, v83, v42, -v78
	v_fmac_f32_e32 v105, v84, v42
	v_fma_f32 v84, v87, v36, -v118
	v_mul_f32_e32 v74, v86, v51
	v_fma_f32 v132, v95, v56, -v73
	v_mul_f32_e32 v73, v100, v59
	v_fma_f32 v130, v85, v50, -v74
	v_fma_f32 v206, v99, v58, -v73
	v_mul_f32_e32 v211, v99, v59
	s_waitcnt vmcnt(2)
	v_mul_f32_e32 v73, v111, v53
	v_add_f32_e32 v74, v128, v84
	v_mul_f32_e32 v119, v87, v37
	v_mul_f32_e32 v118, v75, v49
	;; [unrolled: 1-line block ×3, first 2 shown]
	v_fmac_f32_e32 v211, v100, v58
	v_fma_f32 v100, v110, v52, -v73
	v_mul_f32_e32 v73, v115, v55
	v_fma_f32 v75, -0.5, v74, v69
	v_fmac_f32_e32 v119, v88, v36
	v_fma_f32 v78, v91, v38, -v120
	v_fma_f32 v131, v89, v44, -v77
	v_fmac_f32_e32 v133, v96, v56
	v_mul_f32_e32 v110, v110, v53
	v_fma_f32 v96, v114, v54, -v73
	s_waitcnt vmcnt(1)
	v_mul_f32_e32 v73, v98, v65
	v_sub_f32_e32 v74, v104, v121
	v_mov_b32_e32 v77, v75
	v_mul_f32_e32 v120, v85, v51
	v_fmac_f32_e32 v118, v76, v48
	v_fmac_f32_e32 v110, v111, v52
	v_mul_f32_e32 v111, v114, v55
	v_fma_f32 v114, v97, v64, -v73
	v_mul_f32_e32 v73, v102, v67
	v_fmac_f32_e32 v77, 0x3f737871, v74
	v_sub_f32_e32 v76, v105, v119
	v_sub_f32_e32 v83, v127, v128
	v_sub_f32_e32 v85, v78, v84
	v_fmac_f32_e32 v75, 0xbf737871, v74
	v_fma_f32 v212, v101, v66, -v73
	v_mul_f32_e32 v101, v101, v67
	s_waitcnt vmcnt(0)
	v_mul_f32_e32 v73, v113, v61
	v_fmac_f32_e32 v77, 0x3f167918, v76
	v_add_f32_e32 v83, v83, v85
	v_fmac_f32_e32 v75, 0xbf167918, v76
	v_fmac_f32_e32 v101, v102, v66
	v_fma_f32 v102, v112, v60, -v73
	v_mul_f32_e32 v112, v112, v61
	v_mul_f32_e32 v73, v117, v63
	v_fmac_f32_e32 v77, 0x3e9e377a, v83
	v_fmac_f32_e32 v75, 0x3e9e377a, v83
	v_add_f32_e32 v83, v127, v78
	v_fmac_f32_e32 v112, v113, v60
	v_fma_f32 v113, v116, v62, -v73
	v_add_f32_e32 v73, v69, v127
	v_fma_f32 v69, -0.5, v83, v69
	v_mov_b32_e32 v83, v69
	v_fmac_f32_e32 v120, v86, v50
	v_add_f32_e32 v73, v73, v128
	v_fmac_f32_e32 v83, 0xbf737871, v76
	v_sub_f32_e32 v85, v128, v127
	v_sub_f32_e32 v86, v84, v78
	v_fmac_f32_e32 v69, 0x3f737871, v76
	v_add_f32_e32 v76, v105, v119
	v_add_f32_e32 v73, v73, v84
	v_fmac_f32_e32 v83, 0x3f167918, v74
	v_add_f32_e32 v85, v85, v86
	v_fmac_f32_e32 v69, 0xbf167918, v74
	v_fma_f32 v76, -0.5, v76, v70
	v_add_f32_e32 v73, v73, v78
	v_fmac_f32_e32 v83, 0x3e9e377a, v85
	v_fmac_f32_e32 v69, 0x3e9e377a, v85
	v_sub_f32_e32 v85, v127, v78
	v_mov_b32_e32 v78, v76
	v_fmac_f32_e32 v78, 0xbf737871, v85
	v_sub_f32_e32 v86, v128, v84
	v_sub_f32_e32 v84, v104, v105
	;; [unrolled: 1-line block ×3, first 2 shown]
	v_fmac_f32_e32 v76, 0x3f737871, v85
	v_fmac_f32_e32 v78, 0xbf167918, v86
	v_add_f32_e32 v84, v84, v87
	v_fmac_f32_e32 v76, 0x3f167918, v86
	v_fmac_f32_e32 v78, 0x3e9e377a, v84
	;; [unrolled: 1-line block ×3, first 2 shown]
	v_add_f32_e32 v84, v104, v121
	v_add_f32_e32 v74, v70, v104
	v_fma_f32 v70, -0.5, v84, v70
	v_mov_b32_e32 v84, v70
	v_fmac_f32_e32 v84, 0x3f737871, v86
	v_sub_f32_e32 v87, v105, v104
	v_sub_f32_e32 v88, v119, v121
	v_fmac_f32_e32 v70, 0xbf737871, v86
	v_mul_f32_e32 v93, v93, v47
	v_fmac_f32_e32 v84, 0xbf167918, v85
	v_add_f32_e32 v87, v87, v88
	v_fmac_f32_e32 v70, 0x3f167918, v85
	v_add_f32_e32 v86, v130, v131
	v_fmac_f32_e32 v93, v94, v46
	v_fmac_f32_e32 v84, 0x3e9e377a, v87
	;; [unrolled: 1-line block ×3, first 2 shown]
	v_fma_f32 v87, -0.5, v86, v71
	v_sub_f32_e32 v86, v118, v93
	v_mov_b32_e32 v89, v87
	v_fmac_f32_e32 v89, 0x3f737871, v86
	v_sub_f32_e32 v88, v120, v129
	v_sub_f32_e32 v91, v92, v130
	;; [unrolled: 1-line block ×3, first 2 shown]
	v_fmac_f32_e32 v87, 0xbf737871, v86
	v_fmac_f32_e32 v89, 0x3f167918, v88
	v_add_f32_e32 v91, v91, v94
	v_fmac_f32_e32 v87, 0xbf167918, v88
	v_fmac_f32_e32 v89, 0x3e9e377a, v91
	;; [unrolled: 1-line block ×3, first 2 shown]
	v_add_f32_e32 v91, v92, v90
	v_add_f32_e32 v85, v71, v92
	v_fma_f32 v71, -0.5, v91, v71
	v_mov_b32_e32 v91, v71
	v_add_f32_e32 v85, v85, v130
	v_fmac_f32_e32 v91, 0xbf737871, v88
	v_sub_f32_e32 v94, v130, v92
	v_sub_f32_e32 v95, v131, v90
	v_fmac_f32_e32 v71, 0x3f737871, v88
	v_add_f32_e32 v88, v120, v129
	v_add_f32_e32 v85, v85, v131
	v_fmac_f32_e32 v91, 0x3f167918, v86
	v_add_f32_e32 v94, v94, v95
	v_fmac_f32_e32 v71, 0xbf167918, v86
	v_fma_f32 v88, -0.5, v88, v72
	v_add_f32_e32 v85, v85, v90
	v_fmac_f32_e32 v91, 0x3e9e377a, v94
	v_fmac_f32_e32 v71, 0x3e9e377a, v94
	v_sub_f32_e32 v94, v92, v90
	v_mov_b32_e32 v90, v88
	v_fmac_f32_e32 v111, v115, v54
	v_mul_f32_e32 v115, v97, v65
	v_fmac_f32_e32 v90, 0xbf737871, v94
	v_sub_f32_e32 v95, v130, v131
	v_sub_f32_e32 v92, v118, v120
	;; [unrolled: 1-line block ×3, first 2 shown]
	v_fmac_f32_e32 v88, 0x3f737871, v94
	v_fmac_f32_e32 v90, 0xbf167918, v95
	v_add_f32_e32 v92, v92, v97
	v_fmac_f32_e32 v88, 0x3f167918, v95
	v_fmac_f32_e32 v90, 0x3e9e377a, v92
	v_fmac_f32_e32 v88, 0x3e9e377a, v92
	v_add_f32_e32 v92, v118, v93
	v_add_f32_e32 v86, v72, v118
	v_fmac_f32_e32 v72, -0.5, v92
	v_mov_b32_e32 v92, v72
	v_fmac_f32_e32 v92, 0x3f737871, v95
	v_fmac_f32_e32 v72, 0xbf737871, v95
	v_add_f32_e32 v86, v86, v120
	v_fmac_f32_e32 v92, 0xbf167918, v94
	v_fmac_f32_e32 v72, 0x3f167918, v94
	v_add_f32_e32 v94, v206, v100
	v_add_f32_e32 v86, v86, v129
	v_fma_f32 v104, -0.5, v94, v106
	v_add_f32_e32 v86, v86, v93
	v_sub_f32_e32 v97, v120, v118
	v_sub_f32_e32 v93, v129, v93
	;; [unrolled: 1-line block ×3, first 2 shown]
	v_mov_b32_e32 v95, v104
	v_fmac_f32_e32 v115, v98, v64
	v_add_f32_e32 v93, v97, v93
	v_fmac_f32_e32 v95, 0x3f737871, v94
	v_sub_f32_e32 v98, v211, v110
	v_sub_f32_e32 v97, v132, v206
	;; [unrolled: 1-line block ×3, first 2 shown]
	v_fmac_f32_e32 v104, 0xbf737871, v94
	v_fmac_f32_e32 v95, 0x3f167918, v98
	v_add_f32_e32 v97, v97, v99
	v_fmac_f32_e32 v104, 0xbf167918, v98
	v_fmac_f32_e32 v95, 0x3e9e377a, v97
	;; [unrolled: 1-line block ×3, first 2 shown]
	v_add_f32_e32 v97, v132, v96
	v_fma_f32 v97, -0.5, v97, v106
	v_mov_b32_e32 v99, v97
	v_add_f32_e32 v74, v74, v105
	v_fmac_f32_e32 v92, 0x3e9e377a, v93
	v_fmac_f32_e32 v72, 0x3e9e377a, v93
	v_add_f32_e32 v93, v106, v132
	v_fmac_f32_e32 v99, 0xbf737871, v98
	v_sub_f32_e32 v105, v206, v132
	v_sub_f32_e32 v106, v100, v96
	v_fmac_f32_e32 v97, 0x3f737871, v98
	v_add_f32_e32 v93, v93, v206
	v_fmac_f32_e32 v99, 0x3f167918, v94
	v_add_f32_e32 v105, v105, v106
	;; [unrolled: 2-line block ×3, first 2 shown]
	v_add_f32_e32 v93, v93, v100
	v_fmac_f32_e32 v99, 0x3e9e377a, v105
	v_fmac_f32_e32 v97, 0x3e9e377a, v105
	v_fma_f32 v105, -0.5, v98, v107
	v_add_f32_e32 v93, v93, v96
	v_sub_f32_e32 v106, v132, v96
	v_mov_b32_e32 v96, v105
	v_mul_f32_e32 v213, v116, v63
	v_fmac_f32_e32 v96, 0xbf737871, v106
	v_sub_f32_e32 v116, v206, v100
	v_sub_f32_e32 v98, v133, v211
	;; [unrolled: 1-line block ×3, first 2 shown]
	v_fmac_f32_e32 v105, 0x3f737871, v106
	v_fmac_f32_e32 v96, 0xbf167918, v116
	v_add_f32_e32 v98, v98, v100
	v_fmac_f32_e32 v105, 0x3f167918, v116
	v_fmac_f32_e32 v96, 0x3e9e377a, v98
	v_fmac_f32_e32 v105, 0x3e9e377a, v98
	v_add_f32_e32 v98, v133, v111
	v_add_f32_e32 v94, v107, v133
	v_fma_f32 v98, -0.5, v98, v107
	v_add_f32_e32 v94, v94, v211
	v_mov_b32_e32 v100, v98
	v_add_f32_e32 v94, v94, v110
	v_fmac_f32_e32 v100, 0x3f737871, v116
	v_sub_f32_e32 v107, v211, v133
	v_sub_f32_e32 v110, v110, v111
	v_fmac_f32_e32 v98, 0xbf737871, v116
	v_fmac_f32_e32 v100, 0xbf167918, v106
	v_add_f32_e32 v107, v107, v110
	v_fmac_f32_e32 v98, 0x3f167918, v106
	v_fmac_f32_e32 v100, 0x3e9e377a, v107
	;; [unrolled: 1-line block ×3, first 2 shown]
	v_add_f32_e32 v107, v212, v102
	v_fmac_f32_e32 v213, v117, v62
	v_fma_f32 v116, -0.5, v107, v108
	v_sub_f32_e32 v107, v115, v213
	v_mov_b32_e32 v118, v116
	v_add_f32_e32 v94, v94, v111
	v_fmac_f32_e32 v118, 0x3f737871, v107
	v_sub_f32_e32 v110, v101, v112
	v_sub_f32_e32 v111, v114, v212
	;; [unrolled: 1-line block ×3, first 2 shown]
	v_fmac_f32_e32 v116, 0xbf737871, v107
	v_fmac_f32_e32 v118, 0x3f167918, v110
	v_add_f32_e32 v111, v111, v117
	v_fmac_f32_e32 v116, 0xbf167918, v110
	v_fmac_f32_e32 v118, 0x3e9e377a, v111
	;; [unrolled: 1-line block ×3, first 2 shown]
	v_add_f32_e32 v111, v114, v113
	v_add_f32_e32 v106, v108, v114
	v_fma_f32 v108, -0.5, v111, v108
	v_mov_b32_e32 v120, v108
	v_fmac_f32_e32 v120, 0xbf737871, v110
	v_sub_f32_e32 v111, v212, v114
	v_sub_f32_e32 v117, v102, v113
	v_fmac_f32_e32 v108, 0x3f737871, v110
	v_add_f32_e32 v110, v101, v112
	v_add_f32_e32 v106, v106, v212
	;; [unrolled: 1-line block ×3, first 2 shown]
	v_fma_f32 v117, -0.5, v110, v109
	v_add_f32_e32 v74, v74, v119
	v_add_f32_e32 v106, v106, v102
	v_fmac_f32_e32 v120, 0x3f167918, v107
	v_fmac_f32_e32 v108, 0xbf167918, v107
	v_sub_f32_e32 v110, v114, v113
	v_mov_b32_e32 v119, v117
	v_add_f32_e32 v106, v106, v113
	v_fmac_f32_e32 v120, 0x3e9e377a, v111
	v_fmac_f32_e32 v108, 0x3e9e377a, v111
	;; [unrolled: 1-line block ×3, first 2 shown]
	v_sub_f32_e32 v102, v212, v102
	v_sub_f32_e32 v111, v115, v101
	;; [unrolled: 1-line block ×3, first 2 shown]
	v_fmac_f32_e32 v117, 0x3f737871, v110
	v_fmac_f32_e32 v119, 0xbf167918, v102
	v_add_f32_e32 v111, v111, v113
	v_fmac_f32_e32 v117, 0x3f167918, v102
	v_fmac_f32_e32 v119, 0x3e9e377a, v111
	;; [unrolled: 1-line block ×3, first 2 shown]
	v_add_f32_e32 v111, v115, v213
	v_add_f32_e32 v107, v109, v115
	v_fmac_f32_e32 v109, -0.5, v111
	v_add_f32_e32 v74, v74, v121
	v_mov_b32_e32 v121, v109
	v_add_f32_e32 v107, v107, v101
	v_fmac_f32_e32 v121, 0x3f737871, v102
	v_sub_f32_e32 v101, v101, v115
	v_sub_f32_e32 v111, v112, v213
	v_fmac_f32_e32 v109, 0xbf737871, v102
	v_fmac_f32_e32 v121, 0xbf167918, v110
	v_add_f32_e32 v101, v101, v111
	v_fmac_f32_e32 v109, 0x3f167918, v110
	v_fmac_f32_e32 v121, 0x3e9e377a, v101
	;; [unrolled: 1-line block ×3, first 2 shown]
	v_mov_b32_e32 v101, 0xb4
	v_cndmask_b32_e32 v101, 0, v101, vcc
	v_add_lshl_u32 v239, v68, v101, 3
	v_mul_u32_u24_e32 v68, 0xb4, v103
	v_add_lshl_u32 v240, v68, v122, 3
	v_mul_u32_u24_e32 v68, 0xb4, v123
	v_add_f32_e32 v107, v107, v112
	v_add_lshl_u32 v241, v68, v124, 3
	v_mul_u32_u24_e32 v68, 0xb4, v125
	v_add_f32_e32 v107, v107, v213
	v_add_lshl_u32 v242, v68, v79, 3
	ds_write2_b64 v239, v[73:74], v[77:78] offset1:36
	ds_write2_b64 v239, v[83:84], v[69:70] offset0:72 offset1:108
	ds_write_b64 v239, v[75:76] offset:1152
	ds_write2_b64 v240, v[85:86], v[89:90] offset1:36
	ds_write2_b64 v240, v[91:92], v[71:72] offset0:72 offset1:108
	ds_write_b64 v240, v[87:88] offset:1152
	ds_write2_b64 v241, v[93:94], v[95:96] offset1:36
	ds_write2_b64 v241, v[99:100], v[97:98] offset0:72 offset1:108
	ds_write_b64 v241, v[104:105] offset:1152
	ds_write2_b64 v242, v[106:107], v[118:119] offset1:36
	ds_write2_b64 v242, v[120:121], v[108:109] offset0:72 offset1:108
	ds_write_b64 v242, v[116:117] offset:1152
	s_waitcnt lgkmcnt(0)
	; wave barrier
	s_waitcnt lgkmcnt(0)
	ds_read2_b64 v[110:113], v199 offset1:63
	ds_read2_b64 v[130:133], v199 offset0:180 offset1:243
	ds_read2_b64 v[126:129], v126 offset0:104 offset1:167
	;; [unrolled: 1-line block ×6, first 2 shown]
	s_and_saveexec_b64 s[6:7], s[2:3]
	s_cbranch_execz .LBB0_11
; %bb.10:
	v_add_u32_e32 v83, 0x200, v199
	ds_read2_b64 v[104:107], v83 offset0:62 offset1:242
	v_add_u32_e32 v84, 0x1a00, v199
	v_add_u32_e32 v83, 0xe00, v199
	ds_read2_b64 v[114:117], v84 offset0:14 offset1:194
	ds_read2_b64 v[118:121], v83 offset0:38 offset1:218
	ds_read_b64 v[197:198], v199 offset:9648
	s_waitcnt lgkmcnt(2)
	v_mov_b32_e32 v108, v114
	v_mov_b32_e32 v109, v115
.LBB0_11:
	s_or_b64 exec, exec, s[6:7]
	v_mad_u64_u32 v[84:85], s[6:7], v200, 48, s[14:15]
	v_lshlrev_b32_e32 v244, 4, v81
	v_lshlrev_b32_e32 v219, 3, v82
	;; [unrolled: 1-line block ×3, first 2 shown]
	global_load_dwordx4 v[80:83], v[84:85], off offset:1456
	global_load_dwordx4 v[88:91], v[84:85], off offset:1440
	;; [unrolled: 1-line block ×3, first 2 shown]
	s_movk_i32 s6, 0x1160
	s_waitcnt vmcnt(2) lgkmcnt(1)
	v_mul_f32_e32 v115, v72, v81
	s_waitcnt vmcnt(1)
	v_mul_f32_e32 v252, v76, v91
	s_waitcnt vmcnt(0)
	v_mul_f32_e32 v86, v131, v97
	v_fma_f32 v245, v130, v96, -v86
	v_mul_f32_e32 v86, v127, v99
	v_fma_f32 v247, v126, v98, -v86
	;; [unrolled: 2-line block ×5, first 2 shown]
	s_waitcnt lgkmcnt(0)
	v_mul_f32_e32 v72, v69, v83
	v_fma_f32 v203, v68, v82, -v72
	v_mul_f32_e32 v204, v68, v83
	v_add_co_u32_e32 v68, vcc, s6, v84
	v_fmac_f32_e32 v204, v69, v82
	v_addc_co_u32_e32 v69, vcc, 0, v85, vcc
	v_add_co_u32_e32 v72, vcc, s16, v84
	v_fmac_f32_e32 v115, v73, v80
	v_addc_co_u32_e32 v73, vcc, 0, v85, vcc
	global_load_dwordx4 v[100:103], v[72:73], off offset:352
	global_load_dwordx4 v[84:87], v[68:69], off offset:32
	;; [unrolled: 1-line block ×3, first 2 shown]
	v_mul_f32_e32 v250, v122, v89
	v_mul_f32_e32 v248, v126, v99
	v_fmac_f32_e32 v248, v127, v98
	v_mul_f32_e32 v246, v130, v97
	v_fmac_f32_e32 v250, v123, v88
	v_fmac_f32_e32 v246, v131, v96
	;; [unrolled: 1-line block ×3, first 2 shown]
	v_add_f32_e32 v206, v250, v252
	v_sub_f32_e32 v211, v251, v249
	v_sub_f32_e32 v212, v252, v250
	s_mov_b32 s16, 0xbf3bfb3b
	s_mov_b32 s6, 0xbeae86e6
	s_waitcnt vmcnt(2)
	v_mul_f32_e32 v68, v133, v101
	v_fma_f32 v122, v132, v100, -v68
	v_mul_f32_e32 v68, v129, v103
	v_fma_f32 v126, v128, v102, -v68
	s_waitcnt vmcnt(0)
	v_mul_f32_e32 v68, v125, v93
	v_mul_f32_e32 v127, v128, v103
	v_fma_f32 v128, v124, v92, -v68
	v_mul_f32_e32 v124, v124, v93
	v_mul_f32_e32 v68, v79, v95
	v_fmac_f32_e32 v124, v125, v92
	v_fma_f32 v125, v78, v94, -v68
	v_mul_f32_e32 v68, v75, v85
	v_fma_f32 v130, v74, v84, -v68
	v_mul_f32_e32 v68, v71, v87
	v_mul_f32_e32 v123, v132, v101
	v_fma_f32 v132, v70, v86, -v68
	v_subrev_u32_e32 v68, 54, v200
	v_cndmask_b32_e64 v68, v68, v243, s[2:3]
	v_mul_hi_i32_i24_e32 v69, 48, v68
	v_mul_i32_i24_e32 v68, 48, v68
	v_add_co_u32_e32 v76, vcc, s14, v68
	v_mov_b32_e32 v68, s15
	v_fmac_f32_e32 v123, v133, v100
	v_fmac_f32_e32 v127, v129, v102
	v_mul_f32_e32 v129, v78, v95
	v_mul_f32_e32 v131, v74, v85
	;; [unrolled: 1-line block ×3, first 2 shown]
	v_addc_co_u32_e32 v77, vcc, v68, v69, vcc
	v_fmac_f32_e32 v129, v79, v94
	v_fmac_f32_e32 v131, v75, v84
	;; [unrolled: 1-line block ×3, first 2 shown]
	global_load_dwordx4 v[68:71], v[76:77], off offset:1456
	global_load_dwordx4 v[72:75], v[76:77], off offset:1440
	s_nop 0
	global_load_dwordx4 v[76:79], v[76:77], off offset:1424
	s_mov_b32 s14, 0x3f5ff5aa
	s_mov_b32 s15, 0x3f3bfb3b
	s_waitcnt vmcnt(1)
	v_mul_f32_e32 v220, v108, v75
	s_waitcnt vmcnt(0)
	v_mul_f32_e32 v205, v107, v77
	v_fma_f32 v243, v106, v76, -v205
	v_mul_f32_e32 v253, v106, v77
	v_mul_f32_e32 v106, v119, v79
	v_fma_f32 v254, v118, v78, -v106
	v_mul_f32_e32 v118, v118, v79
	v_mul_f32_e32 v106, v121, v73
	v_fmac_f32_e32 v118, v119, v78
	v_fma_f32 v119, v120, v72, -v106
	v_mul_f32_e32 v120, v120, v73
	v_mul_f32_e32 v106, v109, v75
	v_fmac_f32_e32 v120, v121, v72
	v_fma_f32 v121, v108, v74, -v106
	v_mul_f32_e32 v106, v117, v69
	v_fmac_f32_e32 v220, v109, v74
	v_fma_f32 v109, v116, v68, -v106
	v_mul_f32_e32 v106, v198, v71
	v_fmac_f32_e32 v253, v107, v76
	v_mul_f32_e32 v116, v116, v69
	v_fma_f32 v107, v197, v70, -v106
	v_mul_f32_e32 v108, v197, v71
	v_add_f32_e32 v106, v245, v203
	v_sub_f32_e32 v197, v245, v203
	v_add_f32_e32 v203, v247, v114
	v_fmac_f32_e32 v116, v117, v68
	v_fmac_f32_e32 v108, v198, v70
	v_add_f32_e32 v117, v246, v204
	v_sub_f32_e32 v198, v246, v204
	v_add_f32_e32 v204, v248, v115
	v_add_f32_e32 v205, v249, v251
	;; [unrolled: 1-line block ×3, first 2 shown]
	v_sub_f32_e32 v114, v247, v114
	v_sub_f32_e32 v115, v248, v115
	v_add_f32_e32 v214, v204, v117
	v_sub_f32_e32 v215, v203, v106
	v_sub_f32_e32 v106, v106, v205
	;; [unrolled: 1-line block ×3, first 2 shown]
	v_add_f32_e32 v205, v205, v213
	v_sub_f32_e32 v216, v204, v117
	v_sub_f32_e32 v117, v117, v206
	v_sub_f32_e32 v204, v206, v204
	v_add_f32_e32 v217, v211, v114
	v_add_f32_e32 v218, v212, v115
	v_sub_f32_e32 v225, v211, v114
	v_sub_f32_e32 v227, v114, v197
	v_add_f32_e32 v206, v206, v214
	v_add_f32_e32 v114, v110, v205
	v_sub_f32_e32 v226, v212, v115
	v_sub_f32_e32 v212, v198, v212
	;; [unrolled: 1-line block ×3, first 2 shown]
	v_add_f32_e32 v198, v218, v198
	v_add_f32_e32 v115, v111, v206
	v_mul_f32_e32 v218, 0xbf08b237, v225
	v_mov_b32_e32 v225, v114
	v_sub_f32_e32 v211, v197, v211
	v_add_f32_e32 v197, v217, v197
	v_mul_f32_e32 v106, 0x3f4a47b2, v106
	v_mul_f32_e32 v110, 0x3f4a47b2, v117
	;; [unrolled: 1-line block ×5, first 2 shown]
	v_fmac_f32_e32 v225, 0xbf955555, v205
	v_mov_b32_e32 v205, v115
	v_fmac_f32_e32 v205, 0xbf955555, v206
	v_fma_f32 v111, v215, s15, -v111
	v_fma_f32 v117, v216, s15, -v117
	;; [unrolled: 1-line block ×3, first 2 shown]
	v_fmac_f32_e32 v106, 0x3d64c772, v203
	v_fma_f32 v203, v216, s16, -v110
	v_fma_f32 v216, v228, s14, -v217
	v_fmac_f32_e32 v217, 0x3eae86e6, v212
	v_mul_f32_e32 v213, 0x3f5ff5aa, v227
	v_fmac_f32_e32 v110, 0x3d64c772, v204
	v_fma_f32 v215, v227, s14, -v218
	v_fmac_f32_e32 v218, 0x3eae86e6, v211
	v_add_f32_e32 v106, v106, v225
	v_add_f32_e32 v111, v111, v225
	v_fmac_f32_e32 v217, 0x3ee1c552, v198
	v_fmac_f32_e32 v216, 0x3ee1c552, v198
	v_mul_f32_e32 v214, 0x3f5ff5aa, v228
	v_fma_f32 v226, v211, s6, -v213
	v_add_f32_e32 v110, v110, v205
	v_add_f32_e32 v117, v117, v205
	;; [unrolled: 1-line block ×3, first 2 shown]
	v_fmac_f32_e32 v218, 0x3ee1c552, v197
	v_fmac_f32_e32 v215, 0x3ee1c552, v197
	v_add_f32_e32 v203, v217, v106
	v_sub_f32_e32 v211, v111, v216
	v_add_f32_e32 v213, v216, v111
	v_sub_f32_e32 v217, v106, v217
	;; [unrolled: 2-line block ×3, first 2 shown]
	v_add_f32_e32 v122, v126, v130
	v_fma_f32 v227, v212, s6, -v214
	v_sub_f32_e32 v204, v110, v218
	v_add_f32_e32 v212, v215, v117
	v_sub_f32_e32 v214, v117, v215
	v_add_f32_e32 v218, v218, v110
	v_add_f32_e32 v110, v123, v133
	v_sub_f32_e32 v117, v123, v133
	v_add_f32_e32 v123, v127, v131
	v_sub_f32_e32 v126, v126, v130
	;; [unrolled: 2-line block ×3, first 2 shown]
	v_add_f32_e32 v128, v122, v106
	v_add_f32_e32 v225, v206, v225
	v_fmac_f32_e32 v227, 0x3ee1c552, v198
	v_sub_f32_e32 v127, v127, v131
	v_add_f32_e32 v131, v124, v129
	v_sub_f32_e32 v124, v129, v124
	v_add_f32_e32 v129, v123, v110
	v_add_f32_e32 v132, v125, v126
	;; [unrolled: 1-line block ×3, first 2 shown]
	v_fmac_f32_e32 v226, 0x3ee1c552, v197
	v_add_f32_e32 v205, v227, v225
	v_sub_f32_e32 v215, v225, v227
	v_add_f32_e32 v133, v124, v127
	v_sub_f32_e32 v225, v125, v126
	v_sub_f32_e32 v125, v111, v125
	;; [unrolled: 1-line block ×3, first 2 shown]
	v_add_f32_e32 v129, v131, v129
	v_add_f32_e32 v111, v132, v111
	;; [unrolled: 1-line block ×3, first 2 shown]
	v_sub_f32_e32 v206, v228, v226
	v_add_f32_e32 v216, v226, v228
	v_sub_f32_e32 v197, v122, v106
	v_sub_f32_e32 v198, v123, v110
	;; [unrolled: 1-line block ×8, first 2 shown]
	v_add_f32_e32 v117, v133, v117
	v_add_f32_e32 v133, v113, v129
	v_mov_b32_e32 v227, v132
	v_sub_f32_e32 v123, v131, v123
	v_mul_f32_e32 v106, 0x3f4a47b2, v106
	v_mul_f32_e32 v110, 0x3f4a47b2, v110
	;; [unrolled: 1-line block ×5, first 2 shown]
	v_fmac_f32_e32 v227, 0xbf955555, v128
	v_mov_b32_e32 v128, v133
	v_mul_f32_e32 v113, 0x3d64c772, v123
	v_mul_f32_e32 v225, 0x3f5ff5aa, v126
	v_fmac_f32_e32 v128, 0xbf955555, v129
	v_fma_f32 v112, v197, s15, -v112
	v_fma_f32 v129, v197, s16, -v106
	v_fmac_f32_e32 v106, 0x3d64c772, v122
	v_fma_f32 v122, v198, s16, -v110
	v_fmac_f32_e32 v110, 0x3d64c772, v123
	;; [unrolled: 2-line block ×4, first 2 shown]
	v_mul_f32_e32 v226, 0x3f5ff5aa, v127
	v_fma_f32 v113, v198, s15, -v113
	v_fma_f32 v125, v125, s6, -v225
	v_add_f32_e32 v106, v106, v227
	v_add_f32_e32 v110, v110, v128
	;; [unrolled: 1-line block ×3, first 2 shown]
	v_fmac_f32_e32 v130, 0x3ee1c552, v111
	v_fmac_f32_e32 v131, 0x3ee1c552, v117
	;; [unrolled: 1-line block ×3, first 2 shown]
	v_fma_f32 v124, v124, s6, -v226
	v_add_f32_e32 v113, v113, v128
	v_fmac_f32_e32 v123, 0x3ee1c552, v111
	v_fmac_f32_e32 v125, 0x3ee1c552, v111
	v_add_f32_e32 v225, v131, v106
	v_sub_f32_e32 v226, v110, v130
	v_sub_f32_e32 v245, v112, v126
	v_add_f32_e32 v247, v126, v112
	v_sub_f32_e32 v251, v106, v131
	v_add_f32_e32 v252, v130, v110
	v_add_f32_e32 v106, v243, v107
	;; [unrolled: 1-line block ×3, first 2 shown]
	v_sub_f32_e32 v112, v243, v107
	v_sub_f32_e32 v107, v253, v108
	v_add_f32_e32 v108, v254, v109
	v_add_f32_e32 v111, v118, v116
	;; [unrolled: 1-line block ×3, first 2 shown]
	v_fmac_f32_e32 v124, 0x3ee1c552, v117
	v_add_f32_e32 v246, v123, v113
	v_sub_f32_e32 v248, v113, v123
	v_sub_f32_e32 v113, v254, v109
	;; [unrolled: 1-line block ×3, first 2 shown]
	v_add_f32_e32 v116, v119, v121
	v_add_f32_e32 v117, v120, v220
	v_sub_f32_e32 v118, v121, v119
	v_sub_f32_e32 v119, v220, v120
	v_add_f32_e32 v120, v108, v106
	v_add_f32_e32 v121, v111, v110
	;; [unrolled: 1-line block ×3, first 2 shown]
	v_sub_f32_e32 v228, v122, v125
	v_add_f32_e32 v250, v125, v122
	v_sub_f32_e32 v123, v110, v117
	v_sub_f32_e32 v125, v117, v111
	v_add_f32_e32 v120, v116, v120
	v_add_f32_e32 v117, v117, v121
	;; [unrolled: 1-line block ×3, first 2 shown]
	v_sub_f32_e32 v249, v127, v124
	v_sub_f32_e32 v122, v106, v116
	v_add_f32_e32 v128, v118, v113
	v_add_f32_e32 v129, v119, v109
	v_sub_f32_e32 v126, v118, v113
	v_sub_f32_e32 v127, v119, v109
	;; [unrolled: 1-line block ×4, first 2 shown]
	v_add_f32_e32 v104, v104, v120
	v_add_f32_e32 v105, v105, v117
	v_sub_f32_e32 v124, v116, v108
	v_add_f32_e32 v130, v128, v112
	v_add_f32_e32 v131, v129, v107
	v_mul_f32_e32 v122, 0x3f4a47b2, v122
	v_mul_f32_e32 v128, 0x3f4a47b2, v123
	;; [unrolled: 1-line block ×4, first 2 shown]
	v_mov_b32_e32 v116, v104
	v_mov_b32_e32 v121, v105
	v_fmac_f32_e32 v116, 0xbf955555, v120
	v_fmac_f32_e32 v121, 0xbf955555, v117
	v_mov_b32_e32 v119, v122
	v_mov_b32_e32 v120, v128
	;; [unrolled: 1-line block ×4, first 2 shown]
	v_fmac_f32_e32 v119, 0x3d64c772, v124
	v_fmac_f32_e32 v120, 0x3d64c772, v125
	;; [unrolled: 1-line block ×4, first 2 shown]
	v_add_f32_e32 v119, v119, v116
	v_add_f32_e32 v120, v120, v121
	v_fmac_f32_e32 v117, 0x3ee1c552, v130
	v_fmac_f32_e32 v118, 0x3ee1c552, v131
	v_sub_f32_e32 v197, v119, v118
	v_add_f32_e32 v198, v117, v120
	ds_write_b64 v199, v[203:204] offset:1440
	ds_write_b64 v199, v[205:206] offset:2880
	;; [unrolled: 1-line block ×6, first 2 shown]
	ds_write2_b64 v199, v[114:115], v[132:133] offset1:63
	ds_write_b64 v199, v[225:226] offset:1944
	ds_write_b64 v199, v[227:228] offset:3384
	;; [unrolled: 1-line block ×6, first 2 shown]
	s_and_saveexec_b64 s[6:7], s[2:3]
	s_cbranch_execz .LBB0_13
; %bb.12:
	v_sub_f32_e32 v106, v108, v106
	s_mov_b32 s17, 0xbf5ff5aa
	v_fma_f32 v108, v106, s16, -v122
	v_sub_f32_e32 v122, v109, v107
	v_mul_f32_e32 v115, 0x3d64c772, v125
	v_mul_f32_e32 v125, 0x3ee1c552, v131
	v_sub_f32_e32 v111, v111, v110
	v_fma_f32 v107, v122, s17, -v123
	v_mul_f32_e32 v114, 0x3d64c772, v124
	v_mul_f32_e32 v126, 0xbf08b237, v126
	v_mul_f32_e32 v127, 0xbf08b237, v127
	v_sub_f32_e32 v112, v113, v112
	v_add_f32_e32 v123, v125, v107
	v_fma_f32 v107, v111, s15, -v115
	v_mul_f32_e32 v124, 0x3ee1c552, v130
	v_fma_f32 v113, v112, s17, -v129
	v_fma_f32 v110, v111, s16, -v128
	v_add_f32_e32 v111, v107, v121
	v_fma_f32 v107, v112, s14, -v126
	v_fma_f32 v115, v122, s14, -v127
	;; [unrolled: 1-line block ×3, first 2 shown]
	v_add_f32_e32 v113, v124, v113
	v_add_f32_e32 v128, v110, v121
	;; [unrolled: 1-line block ×7, first 2 shown]
	v_sub_f32_e32 v109, v108, v123
	v_sub_f32_e32 v107, v111, v112
	v_add_f32_e32 v106, v115, v114
	v_add_f32_e32 v112, v112, v111
	v_sub_f32_e32 v111, v114, v115
	v_sub_f32_e32 v114, v128, v113
	v_add_f32_e32 v113, v123, v108
	v_sub_f32_e32 v116, v120, v117
	v_add_f32_e32 v115, v118, v119
	v_add_u32_e32 v108, 0x200, v199
	ds_write2_b64 v108, v[104:105], v[115:116] offset0:62 offset1:242
	v_add_u32_e32 v104, 0xe00, v199
	ds_write2_b64 v104, v[113:114], v[111:112] offset0:38 offset1:218
	;; [unrolled: 2-line block ×3, first 2 shown]
	ds_write_b64 v199, v[197:198] offset:9648
.LBB0_13:
	s_or_b64 exec, exec, s[6:7]
	v_lshlrev_b32_e32 v104, 3, v200
	v_add_co_u32_e32 v125, vcc, s12, v104
	v_mov_b32_e32 v104, s13
	v_addc_co_u32_e32 v126, vcc, 0, v104, vcc
	v_add_co_u32_e32 v114, vcc, 0x2760, v125
	v_addc_co_u32_e32 v115, vcc, 0, v126, vcc
	v_add_co_u32_e32 v104, vcc, 0x2000, v125
	v_addc_co_u32_e32 v105, vcc, 0, v126, vcc
	s_waitcnt lgkmcnt(0)
	; wave barrier
	s_waitcnt lgkmcnt(0)
	global_load_dwordx2 v[104:105], v[104:105], off offset:1888
	ds_read2_b64 v[106:109], v199 offset1:63
	v_add_u32_e32 v116, 0x1000, v199
	s_movk_i32 s6, 0x4000
	s_waitcnt vmcnt(0) lgkmcnt(0)
	v_mul_f32_e32 v110, v107, v105
	v_mul_f32_e32 v111, v106, v105
	v_fma_f32 v110, v106, v104, -v110
	v_fmac_f32_e32 v111, v107, v104
	v_add_co_u32_e32 v104, vcc, 0x3000, v125
	v_addc_co_u32_e32 v105, vcc, 0, v126, vcc
	global_load_dwordx2 v[117:118], v[104:105], off offset:2832
	ds_write_b64 v199, v[110:111]
	ds_read2_b64 v[110:113], v116 offset0:118 offset1:181
	v_add_co_u32_e32 v127, vcc, s6, v125
	v_addc_co_u32_e32 v128, vcc, 0, v126, vcc
	s_waitcnt vmcnt(0) lgkmcnt(0)
	v_mul_f32_e32 v106, v111, v118
	v_mul_f32_e32 v107, v110, v118
	v_fma_f32 v106, v110, v117, -v106
	v_fmac_f32_e32 v107, v111, v117
	global_load_dwordx2 v[110:111], v[114:115], off offset:504
	s_waitcnt vmcnt(0)
	v_mul_f32_e32 v117, v109, v111
	v_mul_f32_e32 v118, v108, v111
	v_fma_f32 v117, v108, v110, -v117
	v_fmac_f32_e32 v118, v109, v110
	global_load_dwordx2 v[108:109], v[104:105], off offset:3336
	s_waitcnt vmcnt(0)
	v_mul_f32_e32 v110, v113, v109
	v_mul_f32_e32 v122, v112, v109
	v_fma_f32 v121, v112, v108, -v110
	v_fmac_f32_e32 v122, v113, v108
	global_load_dwordx2 v[112:113], v[114:115], off offset:1008
	ds_read2_b64 v[108:111], v199 offset0:126 offset1:189
	s_waitcnt vmcnt(0) lgkmcnt(0)
	v_mul_f32_e32 v119, v109, v113
	v_mul_f32_e32 v120, v108, v113
	v_fma_f32 v119, v108, v112, -v119
	v_fmac_f32_e32 v120, v109, v112
	global_load_dwordx2 v[112:113], v[104:105], off offset:3840
	v_add_u32_e32 v109, 0x1400, v199
	ds_write2_b64 v199, v[117:118], v[119:120] offset0:63 offset1:126
	ds_read2_b64 v[117:120], v109 offset0:116 offset1:179
	global_load_dwordx2 v[104:105], v[104:105], off offset:2328
	s_waitcnt vmcnt(1) lgkmcnt(0)
	v_mul_f32_e32 v108, v118, v113
	v_mul_f32_e32 v124, v117, v113
	v_fma_f32 v123, v117, v112, -v108
	v_fmac_f32_e32 v124, v118, v112
	global_load_dwordx2 v[112:113], v[114:115], off offset:1512
	ds_write2_b64 v116, v[121:122], v[123:124] offset0:181 offset1:244
	v_add_u32_e32 v117, 0x400, v199
	s_waitcnt vmcnt(0)
	v_mul_f32_e32 v108, v111, v113
	v_mul_f32_e32 v122, v110, v113
	v_fma_f32 v121, v110, v112, -v108
	v_fmac_f32_e32 v122, v111, v112
	global_load_dwordx2 v[110:111], v[127:128], off offset:248
	s_waitcnt vmcnt(0)
	v_mul_f32_e32 v108, v120, v111
	v_fma_f32 v123, v119, v110, -v108
	v_mul_f32_e32 v124, v119, v111
	global_load_dwordx2 v[118:119], v[114:115], off offset:2016
	v_fmac_f32_e32 v124, v120, v110
	ds_read2_b64 v[110:113], v117 offset0:124 offset1:187
	s_waitcnt vmcnt(0) lgkmcnt(0)
	v_mul_f32_e32 v108, v111, v119
	v_mul_f32_e32 v126, v110, v119
	v_fma_f32 v125, v110, v118, -v108
	v_fmac_f32_e32 v126, v111, v118
	global_load_dwordx2 v[110:111], v[127:128], off offset:752
	v_add_u32_e32 v108, 0x1800, v199
	ds_write2_b64 v199, v[121:122], v[125:126] offset0:189 offset1:252
	ds_read2_b64 v[118:121], v108 offset0:114 offset1:177
	s_waitcnt vmcnt(0) lgkmcnt(0)
	v_mul_f32_e32 v122, v119, v111
	v_mul_f32_e32 v126, v118, v111
	v_fma_f32 v125, v118, v110, -v122
	v_fmac_f32_e32 v126, v119, v110
	global_load_dwordx2 v[110:111], v[114:115], off offset:2520
	ds_write2_b64 v108, v[123:124], v[125:126] offset0:51 offset1:114
	global_load_dwordx2 v[124:125], v[114:115], off offset:3024
	s_waitcnt vmcnt(1)
	v_mul_f32_e32 v118, v113, v111
	v_mul_f32_e32 v123, v112, v111
	v_fma_f32 v122, v112, v110, -v118
	v_fmac_f32_e32 v123, v113, v110
	global_load_dwordx2 v[110:111], v[127:128], off offset:1256
	s_waitcnt vmcnt(0)
	v_mul_f32_e32 v112, v121, v111
	v_mul_f32_e32 v113, v120, v111
	v_fma_f32 v112, v120, v110, -v112
	v_fmac_f32_e32 v113, v121, v110
	v_add_u32_e32 v110, 0x800, v199
	ds_read2_b64 v[118:121], v110 offset0:122 offset1:185
	s_waitcnt lgkmcnt(0)
	v_mul_f32_e32 v111, v119, v125
	v_mul_f32_e32 v130, v118, v125
	v_fma_f32 v129, v118, v124, -v111
	v_fmac_f32_e32 v130, v119, v124
	ds_write2_b64 v110, v[122:123], v[129:130] offset0:59 offset1:122
	global_load_dwordx2 v[129:130], v[127:128], off offset:1760
	v_add_u32_e32 v118, 0x1c00, v199
	ds_read2_b64 v[122:125], v118 offset0:112 offset1:175
	s_waitcnt vmcnt(0) lgkmcnt(0)
	v_mul_f32_e32 v111, v123, v130
	v_mul_f32_e32 v132, v122, v130
	v_fma_f32 v131, v122, v129, -v111
	v_fmac_f32_e32 v132, v123, v129
	ds_write2_b64 v108, v[112:113], v[131:132] offset0:177 offset1:240
	global_load_dwordx2 v[111:112], v[114:115], off offset:3528
	s_waitcnt vmcnt(0)
	v_mul_f32_e32 v113, v121, v112
	v_mul_f32_e32 v130, v120, v112
	v_fma_f32 v129, v120, v111, -v113
	v_fmac_f32_e32 v130, v121, v111
	global_load_dwordx2 v[111:112], v[127:128], off offset:2264
	s_waitcnt vmcnt(0)
	v_mul_f32_e32 v113, v125, v112
	v_fma_f32 v131, v124, v111, -v113
	v_mul_f32_e32 v132, v124, v112
	global_load_dwordx2 v[112:113], v[114:115], off offset:4032
	v_fmac_f32_e32 v132, v125, v111
	v_add_u32_e32 v111, 0xc00, v199
	ds_read2_b64 v[119:122], v111 offset0:120 offset1:183
	s_waitcnt vmcnt(0) lgkmcnt(0)
	v_mul_f32_e32 v114, v120, v113
	v_mul_f32_e32 v115, v119, v113
	v_fma_f32 v114, v119, v112, -v114
	v_fmac_f32_e32 v115, v120, v112
	global_load_dwordx2 v[112:113], v[127:128], off offset:2768
	v_add_u32_e32 v119, 0x2000, v199
	ds_read2_b64 v[123:126], v119 offset0:110 offset1:173
	ds_write2_b64 v110, v[129:130], v[114:115] offset0:185 offset1:248
	s_waitcnt vmcnt(0) lgkmcnt(1)
	v_mul_f32_e32 v114, v124, v113
	v_mul_f32_e32 v115, v123, v113
	v_fma_f32 v114, v123, v112, -v114
	v_fmac_f32_e32 v115, v124, v112
	v_mul_f32_e32 v112, v122, v105
	v_mul_f32_e32 v113, v121, v105
	v_fma_f32 v112, v121, v104, -v112
	v_fmac_f32_e32 v113, v122, v104
	global_load_dwordx2 v[104:105], v[127:128], off offset:3272
	ds_write2_b64 v116, v[112:113], v[106:107] offset0:55 offset1:118
	ds_write2_b64 v119, v[131:132], v[114:115] offset0:47 offset1:110
	s_waitcnt vmcnt(0)
	v_mul_f32_e32 v106, v126, v105
	v_mul_f32_e32 v107, v125, v105
	v_fma_f32 v106, v125, v104, -v106
	v_fmac_f32_e32 v107, v126, v104
	ds_write_b64 v199, v[106:107] offset:9576
	s_waitcnt lgkmcnt(0)
	; wave barrier
	s_waitcnt lgkmcnt(0)
	ds_read2_b64 v[104:107], v199 offset1:63
	ds_read2_b64 v[120:123], v116 offset0:118 offset1:181
	ds_read2_b64 v[124:127], v199 offset0:126 offset1:189
	;; [unrolled: 1-line block ×9, first 2 shown]
	s_waitcnt lgkmcnt(8)
	v_sub_f32_e32 v122, v106, v122
	v_sub_f32_e32 v227, v104, v120
	v_fma_f32 v120, v106, 2.0, -v122
	s_waitcnt lgkmcnt(6)
	v_sub_f32_e32 v106, v124, v128
	v_fma_f32 v225, v104, 2.0, -v227
	v_fma_f32 v104, v124, 2.0, -v106
	s_waitcnt lgkmcnt(0)
	; wave barrier
	s_waitcnt lgkmcnt(0)
	buffer_load_dword v124, off, s[20:23], 0 ; 4-byte Folded Reload
	v_sub_f32_e32 v228, v105, v121
	v_sub_f32_e32 v123, v107, v123
	v_fma_f32 v226, v105, 2.0, -v228
	v_fma_f32 v121, v107, 2.0, -v123
	ds_write_b128 v202, v[225:228]
	v_sub_f32_e32 v107, v125, v129
	v_fma_f32 v105, v125, 2.0, -v107
	v_sub_f32_e32 v128, v126, v130
	v_sub_f32_e32 v129, v127, v131
	v_fma_f32 v126, v126, 2.0, -v128
	v_fma_f32 v127, v127, 2.0, -v129
	v_sub_f32_e32 v132, v245, v249
	v_sub_f32_e32 v133, v246, v250
	v_fma_f32 v130, v245, 2.0, -v132
	;; [unrolled: 4-line block ×3, first 2 shown]
	v_fma_f32 v248, v248, 2.0, -v250
	v_sub_f32_e32 v213, v205, v213
	v_sub_f32_e32 v214, v206, v214
	;; [unrolled: 1-line block ×4, first 2 shown]
	v_fma_f32 v211, v205, 2.0, -v213
	v_fma_f32 v212, v206, 2.0, -v214
	v_sub_f32_e32 v205, v215, v112
	v_sub_f32_e32 v206, v216, v113
	;; [unrolled: 1-line block ×4, first 2 shown]
	v_fma_f32 v251, v203, 2.0, -v253
	v_fma_f32 v252, v204, 2.0, -v254
	;; [unrolled: 1-line block ×6, first 2 shown]
	s_waitcnt vmcnt(0)
	ds_write_b128 v124, v[120:123]
	buffer_load_dword v120, off, s[20:23], 0 offset:4 ; 4-byte Folded Reload
	s_waitcnt vmcnt(0)
	ds_write_b128 v120, v[104:107]
	buffer_load_dword v104, off, s[20:23], 0 offset:8 ; 4-byte Folded Reload
	;; [unrolled: 3-line block ×5, first 2 shown]
	s_waitcnt vmcnt(0)
	ds_write_b128 v104, v[251:254]
	ds_write_b128 v244, v[211:214]
	;; [unrolled: 1-line block ×4, first 2 shown]
	s_waitcnt lgkmcnt(0)
	; wave barrier
	s_waitcnt lgkmcnt(0)
	ds_read2_b64 v[104:107], v199 offset1:63
	ds_read2_b64 v[112:115], v116 offset0:118 offset1:181
	ds_read2_b64 v[120:123], v199 offset0:126 offset1:189
	;; [unrolled: 1-line block ×9, first 2 shown]
	s_waitcnt lgkmcnt(8)
	v_mul_f32_e32 v109, v135, v113
	v_mul_f32_e32 v111, v135, v112
	v_fmac_f32_e32 v109, v134, v112
	v_fma_f32 v112, v134, v113, -v111
	v_mul_f32_e32 v113, v137, v115
	v_mul_f32_e32 v111, v137, v114
	v_fmac_f32_e32 v113, v210, v114
	v_fma_f32 v114, v210, v115, -v111
	s_waitcnt lgkmcnt(6)
	v_mul_f32_e32 v111, v135, v124
	v_mul_f32_e32 v115, v135, v125
	v_fma_f32 v125, v134, v125, -v111
	v_mul_f32_e32 v111, v184, v126
	v_mul_f32_e32 v132, v184, v127
	v_fma_f32 v127, v183, v127, -v111
	s_waitcnt lgkmcnt(4)
	v_mul_f32_e32 v111, v135, v201
	v_fmac_f32_e32 v132, v183, v126
	v_fma_f32 v137, v134, v202, -v111
	v_mul_f32_e32 v183, v182, v204
	v_mul_f32_e32 v111, v182, v203
	v_fmac_f32_e32 v183, v181, v203
	v_fma_f32 v181, v181, v204, -v111
	s_waitcnt lgkmcnt(2)
	v_mul_f32_e32 v111, v135, v215
	v_fma_f32 v184, v134, v216, -v111
	v_mul_f32_e32 v111, v139, v217
	v_mul_f32_e32 v133, v135, v202
	v_fma_f32 v202, v138, v218, -v111
	s_waitcnt lgkmcnt(0)
	v_mul_f32_e32 v111, v135, v243
	v_fma_f32 v206, v134, v244, -v111
	v_mul_f32_e32 v111, v209, v245
	v_mul_f32_e32 v182, v135, v216
	v_fma_f32 v216, v136, v246, -v111
	v_sub_f32_e32 v111, v104, v109
	s_waitcnt lgkmcnt(0)
	; wave barrier
	buffer_load_dword v109, off, s[20:23], 0 offset:24 ; 4-byte Folded Reload
	v_sub_f32_e32 v112, v105, v112
	v_fma_f32 v104, v104, 2.0, -v111
	v_fma_f32 v105, v105, 2.0, -v112
	v_sub_f32_e32 v113, v106, v113
	v_sub_f32_e32 v114, v107, v114
	v_fma_f32 v106, v106, 2.0, -v113
	v_fma_f32 v107, v107, 2.0, -v114
	v_fmac_f32_e32 v115, v134, v124
	v_sub_f32_e32 v124, v120, v115
	v_sub_f32_e32 v125, v121, v125
	v_fma_f32 v120, v120, 2.0, -v124
	v_fma_f32 v121, v121, 2.0, -v125
	v_sub_f32_e32 v126, v122, v132
	v_sub_f32_e32 v127, v123, v127
	v_fma_f32 v122, v122, 2.0, -v126
	v_fma_f32 v123, v123, 2.0, -v127
	v_fmac_f32_e32 v133, v134, v201
	v_sub_f32_e32 v132, v128, v133
	v_sub_f32_e32 v133, v129, v137
	v_fma_f32 v128, v128, 2.0, -v132
	v_fma_f32 v129, v129, 2.0, -v133
	v_mul_f32_e32 v205, v135, v244
	v_fmac_f32_e32 v182, v134, v215
	v_fmac_f32_e32 v205, v134, v243
	v_sub_f32_e32 v134, v130, v183
	v_sub_f32_e32 v135, v131, v181
	v_fma_f32 v130, v130, 2.0, -v134
	v_fma_f32 v131, v131, 2.0, -v135
	v_mul_f32_e32 v215, v209, v246
	v_mul_f32_e32 v201, v139, v218
	v_fmac_f32_e32 v215, v136, v245
	v_sub_f32_e32 v136, v211, v182
	v_sub_f32_e32 v137, v212, v184
	v_fmac_f32_e32 v201, v138, v217
	v_fma_f32 v138, v211, 2.0, -v136
	v_fma_f32 v139, v212, 2.0, -v137
	v_sub_f32_e32 v201, v213, v201
	v_sub_f32_e32 v202, v214, v202
	v_fma_f32 v203, v213, 2.0, -v201
	v_fma_f32 v204, v214, 2.0, -v202
	v_sub_f32_e32 v205, v225, v205
	v_sub_f32_e32 v206, v226, v206
	;; [unrolled: 4-line block ×3, first 2 shown]
	v_fma_f32 v181, v227, 2.0, -v183
	v_fma_f32 v182, v228, 2.0, -v184
	s_waitcnt vmcnt(0)
	ds_write2_b64 v109, v[104:105], v[111:112] offset1:2
	buffer_load_dword v104, off, s[20:23], 0 offset:28 ; 4-byte Folded Reload
	s_waitcnt vmcnt(0)
	ds_write2_b64 v104, v[106:107], v[113:114] offset1:2
	buffer_load_dword v104, off, s[20:23], 0 offset:32 ; 4-byte Folded Reload
	;; [unrolled: 3-line block ×9, first 2 shown]
	s_waitcnt vmcnt(0)
	ds_write2_b64 v104, v[181:182], v[183:184] offset1:2
	s_waitcnt lgkmcnt(0)
	; wave barrier
	s_waitcnt lgkmcnt(0)
	ds_read2_b64 v[112:115], v199 offset1:63
	ds_read2_b64 v[136:139], v110 offset0:164 offset1:227
	ds_read2_b64 v[132:135], v108 offset0:72 offset1:135
	;; [unrolled: 1-line block ×8, first 2 shown]
	s_and_saveexec_b64 s[6:7], s[0:1]
	s_cbranch_execz .LBB0_15
; %bb.14:
	ds_read_b64 v[181:182], v199 offset:3024
	ds_read_b64 v[183:184], v199 offset:6384
	;; [unrolled: 1-line block ×3, first 2 shown]
.LBB0_15:
	s_or_b64 exec, exec, s[6:7]
	s_waitcnt lgkmcnt(7)
	v_mul_f32_e32 v201, v1, v137
	v_fmac_f32_e32 v201, v0, v136
	v_mul_f32_e32 v136, v1, v136
	v_fma_f32 v136, v0, v137, -v136
	s_waitcnt lgkmcnt(6)
	v_mul_f32_e32 v137, v3, v133
	v_fmac_f32_e32 v137, v2, v132
	v_mul_f32_e32 v132, v3, v132
	v_fma_f32 v132, v2, v133, -v132
	v_mul_f32_e32 v133, v186, v139
	v_fmac_f32_e32 v133, v224, v138
	v_mul_f32_e32 v138, v186, v138
	v_fma_f32 v138, v224, v139, -v138
	;; [unrolled: 4-line block ×3, first 2 shown]
	s_waitcnt lgkmcnt(4)
	v_mul_f32_e32 v135, v188, v129
	v_fmac_f32_e32 v135, v223, v128
	v_mul_f32_e32 v128, v188, v128
	v_fma_f32 v128, v223, v129, -v128
	s_waitcnt lgkmcnt(3)
	v_mul_f32_e32 v129, v192, v125
	v_fmac_f32_e32 v129, v196, v124
	v_mul_f32_e32 v124, v192, v124
	v_fma_f32 v124, v196, v125, -v124
	v_mul_f32_e32 v125, v5, v131
	v_mul_f32_e32 v5, v5, v130
	v_fmac_f32_e32 v125, v4, v130
	v_fma_f32 v130, v4, v131, -v5
	v_mul_f32_e32 v131, v7, v127
	v_mul_f32_e32 v4, v7, v126
	v_fmac_f32_e32 v131, v6, v126
	v_fma_f32 v126, v6, v127, -v4
	s_waitcnt lgkmcnt(1)
	v_mul_f32_e32 v127, v1, v121
	v_mul_f32_e32 v1, v1, v120
	v_fmac_f32_e32 v127, v0, v120
	v_fma_f32 v186, v0, v121, -v1
	s_waitcnt lgkmcnt(0)
	v_mul_f32_e32 v0, v3, v116
	v_mul_f32_e32 v188, v3, v117
	v_fma_f32 v190, v2, v117, -v0
	v_mul_f32_e32 v192, v193, v123
	v_mul_f32_e32 v0, v193, v122
	v_add_f32_e32 v3, v136, v132
	v_fmac_f32_e32 v192, v185, v122
	v_fma_f32 v185, v185, v123, -v0
	v_mul_f32_e32 v193, v221, v119
	v_mul_f32_e32 v0, v221, v118
	v_add_f32_e32 v1, v201, v137
	v_fma_f32 v3, -0.5, v3, v113
	v_fmac_f32_e32 v188, v2, v116
	v_fmac_f32_e32 v193, v189, v118
	v_fma_f32 v189, v189, v119, -v0
	v_mul_f32_e32 v194, v195, v184
	v_mul_f32_e32 v0, v195, v183
	v_fma_f32 v2, -0.5, v1, v112
	v_sub_f32_e32 v6, v201, v137
	v_mov_b32_e32 v5, v3
	v_add_f32_e32 v7, v133, v139
	v_fmac_f32_e32 v194, v187, v183
	v_fma_f32 v183, v187, v184, -v0
	v_mul_f32_e32 v0, v222, v197
	v_sub_f32_e32 v1, v136, v132
	v_mov_b32_e32 v4, v2
	v_fmac_f32_e32 v5, 0x3f5db3d7, v6
	v_fmac_f32_e32 v3, 0xbf5db3d7, v6
	v_add_f32_e32 v6, v114, v133
	v_fma_f32 v114, -0.5, v7, v114
	v_fma_f32 v187, v191, v198, -v0
	v_add_f32_e32 v0, v112, v201
	v_fmac_f32_e32 v4, 0xbf5db3d7, v1
	v_fmac_f32_e32 v2, 0x3f5db3d7, v1
	v_add_f32_e32 v1, v113, v136
	v_sub_f32_e32 v7, v138, v134
	v_mov_b32_e32 v112, v114
	v_add_f32_e32 v113, v138, v134
	v_fmac_f32_e32 v112, 0xbf5db3d7, v7
	v_fmac_f32_e32 v114, 0x3f5db3d7, v7
	v_add_f32_e32 v7, v115, v138
	v_fmac_f32_e32 v115, -0.5, v113
	v_sub_f32_e32 v116, v133, v139
	v_mov_b32_e32 v113, v115
	v_add_f32_e32 v117, v135, v129
	v_fmac_f32_e32 v113, 0x3f5db3d7, v116
	v_fmac_f32_e32 v115, 0xbf5db3d7, v116
	v_add_f32_e32 v116, v108, v135
	v_fma_f32 v108, -0.5, v117, v108
	v_sub_f32_e32 v117, v128, v124
	v_mov_b32_e32 v118, v108
	v_add_f32_e32 v119, v128, v124
	v_fmac_f32_e32 v118, 0xbf5db3d7, v117
	v_fmac_f32_e32 v108, 0x3f5db3d7, v117
	v_add_f32_e32 v117, v109, v128
	v_fma_f32 v109, -0.5, v119, v109
	;; [unrolled: 7-line block ×3, first 2 shown]
	v_sub_f32_e32 v121, v130, v126
	v_mov_b32_e32 v122, v110
	v_add_f32_e32 v123, v130, v126
	v_fmac_f32_e32 v122, 0xbf5db3d7, v121
	v_fmac_f32_e32 v110, 0x3f5db3d7, v121
	v_add_f32_e32 v121, v111, v130
	v_fmac_f32_e32 v111, -0.5, v123
	v_add_f32_e32 v117, v117, v124
	v_sub_f32_e32 v124, v125, v131
	v_mov_b32_e32 v123, v111
	v_add_f32_e32 v125, v127, v188
	v_fmac_f32_e32 v123, 0x3f5db3d7, v124
	v_fmac_f32_e32 v111, 0xbf5db3d7, v124
	v_add_f32_e32 v124, v104, v127
	v_fma_f32 v104, -0.5, v125, v104
	v_add_f32_e32 v121, v121, v126
	v_sub_f32_e32 v125, v186, v190
	v_mov_b32_e32 v126, v104
	v_add_f32_e32 v128, v186, v190
	v_fmac_f32_e32 v126, 0xbf5db3d7, v125
	v_fmac_f32_e32 v104, 0x3f5db3d7, v125
	v_add_f32_e32 v125, v105, v186
	v_fma_f32 v105, -0.5, v128, v105
	;; [unrolled: 8-line block ×3, first 2 shown]
	v_mul_f32_e32 v184, v222, v198
	v_add_f32_e32 v120, v120, v131
	v_sub_f32_e32 v129, v185, v189
	v_mov_b32_e32 v130, v106
	v_add_f32_e32 v131, v185, v189
	v_fmac_f32_e32 v184, v191, v197
	v_fmac_f32_e32 v130, 0xbf5db3d7, v129
	;; [unrolled: 1-line block ×3, first 2 shown]
	v_add_f32_e32 v129, v107, v185
	v_fmac_f32_e32 v107, -0.5, v131
	v_add_f32_e32 v1, v1, v132
	v_sub_f32_e32 v132, v192, v193
	v_mov_b32_e32 v131, v107
	v_add_f32_e32 v133, v194, v184
	v_fmac_f32_e32 v131, 0x3f5db3d7, v132
	v_fmac_f32_e32 v107, 0xbf5db3d7, v132
	v_add_f32_e32 v132, v194, v181
	v_fmac_f32_e32 v181, -0.5, v133
	v_add_f32_e32 v7, v7, v134
	v_sub_f32_e32 v133, v183, v187
	v_mov_b32_e32 v134, v181
	v_add_f32_e32 v135, v183, v187
	v_fmac_f32_e32 v134, 0xbf5db3d7, v133
	v_fmac_f32_e32 v181, 0x3f5db3d7, v133
	v_add_f32_e32 v133, v183, v182
	v_fmac_f32_e32 v182, -0.5, v135
	v_sub_f32_e32 v136, v194, v184
	v_mov_b32_e32 v135, v182
	v_add_f32_e32 v0, v0, v137
	v_add_f32_e32 v132, v132, v184
	;; [unrolled: 1-line block ×3, first 2 shown]
	v_fmac_f32_e32 v135, 0x3f5db3d7, v136
	v_fmac_f32_e32 v182, 0xbf5db3d7, v136
	v_add_f32_e32 v6, v6, v139
	v_add_f32_e32 v124, v124, v188
	;; [unrolled: 1-line block ×5, first 2 shown]
	s_waitcnt lgkmcnt(0)
	; wave barrier
	ds_write2_b64 v255, v[0:1], v[4:5] offset1:4
	ds_write_b64 v255, v[2:3] offset:64
	ds_write2_b64 v231, v[6:7], v[112:113] offset1:4
	ds_write_b64 v231, v[114:115] offset:64
	;; [unrolled: 2-line block ×6, first 2 shown]
	s_and_saveexec_b64 s[6:7], s[0:1]
	s_cbranch_execz .LBB0_17
; %bb.16:
	buffer_load_dword v0, off, s[20:23], 0 offset:68 ; 4-byte Folded Reload
	buffer_load_dword v1, off, s[20:23], 0 offset:64 ; 4-byte Folded Reload
	s_waitcnt vmcnt(1)
	v_mul_u32_u24_e32 v0, 12, v0
	s_waitcnt vmcnt(0)
	v_or_b32_e32 v0, v0, v1
	v_lshlrev_b32_e32 v0, 3, v0
	ds_write2_b64 v0, v[132:133], v[134:135] offset1:4
	ds_write_b64 v0, v[181:182] offset:64
.LBB0_17:
	s_or_b64 exec, exec, s[6:7]
	v_add_u32_e32 v0, 0x800, v199
	s_waitcnt lgkmcnt(0)
	; wave barrier
	s_waitcnt lgkmcnt(0)
	ds_read2_b64 v[128:131], v0 offset0:164 offset1:227
	v_add_u32_e32 v0, 0x1800, v199
	ds_read2_b64 v[104:107], v199 offset1:63
	ds_read2_b64 v[124:127], v0 offset0:72 offset1:135
	ds_read2_b64 v[4:7], v199 offset0:126 offset1:189
	v_add_u32_e32 v0, 0x1c00, v199
	v_add_u32_e32 v108, 0x1000, v199
	ds_read2_b64 v[116:119], v0 offset0:70 offset1:133
	v_add_u32_e32 v0, 0x400, v199
	ds_read2_b64 v[120:123], v108 offset0:34 offset1:97
	ds_read2_b64 v[0:3], v0 offset0:124 offset1:187
	;; [unrolled: 1-line block ×3, first 2 shown]
	v_add_u32_e32 v108, 0x2000, v199
	ds_read2_b64 v[108:111], v108 offset0:68 offset1:131
	s_and_saveexec_b64 s[6:7], s[0:1]
	s_cbranch_execz .LBB0_19
; %bb.18:
	ds_read_b64 v[132:133], v199 offset:3024
	ds_read_b64 v[134:135], v199 offset:6384
	;; [unrolled: 1-line block ×3, first 2 shown]
.LBB0_19:
	s_or_b64 exec, exec, s[6:7]
	s_waitcnt lgkmcnt(8)
	v_mul_f32_e32 v136, v13, v129
	v_mul_f32_e32 v13, v13, v128
	v_fmac_f32_e32 v136, v12, v128
	v_fma_f32 v128, v12, v129, -v13
	s_waitcnt lgkmcnt(6)
	v_mul_f32_e32 v129, v15, v125
	v_fmac_f32_e32 v129, v14, v124
	v_mul_f32_e32 v12, v15, v124
	v_mul_f32_e32 v124, v9, v131
	;; [unrolled: 1-line block ×3, first 2 shown]
	v_fma_f32 v15, v14, v125, -v12
	v_fmac_f32_e32 v124, v8, v130
	v_fma_f32 v125, v8, v131, -v9
	v_mul_f32_e32 v130, v11, v127
	v_mul_f32_e32 v8, v11, v126
	v_fmac_f32_e32 v130, v10, v126
	v_fma_f32 v126, v10, v127, -v8
	s_waitcnt lgkmcnt(3)
	v_mul_f32_e32 v127, v21, v121
	v_mul_f32_e32 v8, v21, v120
	v_fmac_f32_e32 v127, v20, v120
	v_fma_f32 v120, v20, v121, -v8
	v_mul_f32_e32 v121, v23, v117
	v_mul_f32_e32 v8, v23, v116
	v_add_f32_e32 v13, v136, v129
	v_fmac_f32_e32 v121, v22, v116
	v_fma_f32 v116, v22, v117, -v8
	v_mul_f32_e32 v117, v17, v123
	v_mul_f32_e32 v8, v17, v122
	v_fma_f32 v14, -0.5, v13, v104
	v_fmac_f32_e32 v117, v16, v122
	v_fma_f32 v122, v16, v123, -v8
	v_sub_f32_e32 v13, v128, v15
	v_mov_b32_e32 v16, v14
	v_fmac_f32_e32 v16, 0xbf5db3d7, v13
	v_fmac_f32_e32 v14, 0x3f5db3d7, v13
	v_add_f32_e32 v13, v105, v128
	v_add_f32_e32 v13, v13, v15
	v_add_f32_e32 v15, v128, v15
	v_mul_f32_e32 v123, v19, v119
	v_mul_f32_e32 v8, v19, v118
	v_fma_f32 v15, -0.5, v15, v105
	v_fmac_f32_e32 v123, v18, v118
	v_fma_f32 v118, v18, v119, -v8
	v_sub_f32_e32 v18, v136, v129
	v_mov_b32_e32 v17, v15
	v_add_f32_e32 v19, v124, v130
	v_fmac_f32_e32 v17, 0x3f5db3d7, v18
	v_fmac_f32_e32 v15, 0xbf5db3d7, v18
	v_add_f32_e32 v18, v106, v124
	v_fma_f32 v106, -0.5, v19, v106
	v_sub_f32_e32 v19, v125, v126
	v_mov_b32_e32 v20, v106
	v_add_f32_e32 v21, v125, v126
	s_waitcnt lgkmcnt(1)
	v_mul_f32_e32 v119, v25, v113
	v_mul_f32_e32 v8, v25, v112
	v_fmac_f32_e32 v20, 0xbf5db3d7, v19
	v_fmac_f32_e32 v106, 0x3f5db3d7, v19
	v_add_f32_e32 v19, v107, v125
	v_fmac_f32_e32 v107, -0.5, v21
	v_add_f32_e32 v23, v127, v121
	v_fmac_f32_e32 v119, v24, v112
	v_fma_f32 v112, v24, v113, -v8
	s_waitcnt lgkmcnt(0)
	v_mul_f32_e32 v113, v27, v109
	v_mul_f32_e32 v8, v27, v108
	v_sub_f32_e32 v22, v124, v130
	v_mov_b32_e32 v21, v107
	v_fma_f32 v24, -0.5, v23, v4
	v_fmac_f32_e32 v113, v26, v108
	v_fma_f32 v109, v26, v109, -v8
	v_fmac_f32_e32 v21, 0x3f5db3d7, v22
	v_fmac_f32_e32 v107, 0xbf5db3d7, v22
	v_add_f32_e32 v22, v4, v127
	v_sub_f32_e32 v4, v120, v116
	v_mov_b32_e32 v26, v24
	v_fmac_f32_e32 v26, 0xbf5db3d7, v4
	v_fmac_f32_e32 v24, 0x3f5db3d7, v4
	v_add_f32_e32 v4, v5, v120
	v_add_f32_e32 v23, v4, v116
	;; [unrolled: 1-line block ×3, first 2 shown]
	v_fma_f32 v25, -0.5, v4, v5
	v_sub_f32_e32 v4, v127, v121
	v_mov_b32_e32 v27, v25
	v_mul_f32_e32 v131, v29, v115
	v_mul_f32_e32 v8, v29, v114
	v_fmac_f32_e32 v27, 0x3f5db3d7, v4
	v_fmac_f32_e32 v25, 0xbf5db3d7, v4
	v_add_f32_e32 v4, v6, v117
	v_fmac_f32_e32 v131, v28, v114
	v_fma_f32 v114, v28, v115, -v8
	v_add_f32_e32 v28, v4, v123
	v_add_f32_e32 v4, v117, v123
	v_mul_f32_e32 v115, v31, v111
	v_mul_f32_e32 v8, v31, v110
	v_fma_f32 v6, -0.5, v4, v6
	v_fmac_f32_e32 v115, v30, v110
	v_fma_f32 v137, v30, v111, -v8
	v_sub_f32_e32 v4, v122, v118
	v_mov_b32_e32 v30, v6
	v_fmac_f32_e32 v30, 0xbf5db3d7, v4
	v_fmac_f32_e32 v6, 0x3f5db3d7, v4
	v_add_f32_e32 v4, v7, v122
	v_add_f32_e32 v29, v4, v118
	;; [unrolled: 1-line block ×3, first 2 shown]
	v_fmac_f32_e32 v7, -0.5, v4
	v_sub_f32_e32 v4, v117, v123
	v_mov_b32_e32 v31, v7
	v_mul_f32_e32 v8, v33, v135
	v_mul_f32_e32 v9, v33, v134
	v_fmac_f32_e32 v31, 0x3f5db3d7, v4
	v_fmac_f32_e32 v7, 0xbf5db3d7, v4
	v_add_f32_e32 v4, v0, v119
	v_fmac_f32_e32 v8, v32, v134
	v_fma_f32 v10, v32, v135, -v9
	v_mul_f32_e32 v9, v35, v182
	v_mul_f32_e32 v11, v35, v181
	v_add_f32_e32 v32, v4, v113
	v_add_f32_e32 v4, v119, v113
	v_fmac_f32_e32 v9, v34, v181
	v_fma_f32 v11, v34, v182, -v11
	v_fma_f32 v34, -0.5, v4, v0
	v_sub_f32_e32 v0, v112, v109
	v_mov_b32_e32 v108, v34
	v_fmac_f32_e32 v108, 0xbf5db3d7, v0
	v_fmac_f32_e32 v34, 0x3f5db3d7, v0
	v_add_f32_e32 v0, v1, v112
	v_add_f32_e32 v33, v0, v109
	v_add_f32_e32 v0, v112, v109
	v_fma_f32 v35, -0.5, v0, v1
	v_sub_f32_e32 v0, v119, v113
	v_mov_b32_e32 v109, v35
	v_fmac_f32_e32 v109, 0x3f5db3d7, v0
	v_fmac_f32_e32 v35, 0xbf5db3d7, v0
	v_add_f32_e32 v0, v2, v131
	v_add_f32_e32 v110, v0, v115
	v_add_f32_e32 v0, v131, v115
	;; [unrolled: 8-line block ×3, first 2 shown]
	v_fmac_f32_e32 v3, -0.5, v0
	v_sub_f32_e32 v0, v131, v115
	v_mov_b32_e32 v113, v3
	v_fmac_f32_e32 v113, 0x3f5db3d7, v0
	v_fmac_f32_e32 v3, 0xbf5db3d7, v0
	v_add_f32_e32 v0, v8, v9
	v_add_f32_e32 v1, v10, v11
	v_fma_f32 v0, -0.5, v0, v132
	v_fma_f32 v1, -0.5, v1, v133
	v_add_f32_e32 v12, v104, v136
	v_sub_f32_e32 v4, v10, v11
	v_mov_b32_e32 v104, v0
	v_sub_f32_e32 v5, v8, v9
	v_mov_b32_e32 v105, v1
	v_add_f32_e32 v12, v12, v129
	v_fmac_f32_e32 v104, 0x3f5db3d7, v4
	v_fmac_f32_e32 v105, 0xbf5db3d7, v5
	v_add_f32_e32 v18, v18, v130
	v_add_f32_e32 v19, v19, v126
	;; [unrolled: 1-line block ×3, first 2 shown]
	s_waitcnt lgkmcnt(0)
	; wave barrier
	ds_write2_b64 v232, v[12:13], v[16:17] offset1:12
	ds_write_b64 v232, v[14:15] offset:192
	ds_write2_b64 v233, v[18:19], v[20:21] offset1:12
	ds_write_b64 v233, v[106:107] offset:192
	;; [unrolled: 2-line block ×6, first 2 shown]
	s_and_saveexec_b64 s[6:7], s[0:1]
	s_cbranch_execz .LBB0_21
; %bb.20:
	v_add_f32_e32 v2, v10, v133
	v_mul_f32_e32 v4, 0x3f5db3d7, v4
	v_mul_f32_e32 v5, 0x3f5db3d7, v5
	v_add_f32_e32 v3, v11, v2
	v_add_f32_e32 v2, v8, v132
	;; [unrolled: 1-line block ×4, first 2 shown]
	v_sub_f32_e32 v0, v0, v4
	v_lshlrev_b32_e32 v4, 3, v235
	ds_write2_b64 v4, v[2:3], v[0:1] offset1:12
	ds_write_b64 v4, v[104:105] offset:192
.LBB0_21:
	s_or_b64 exec, exec, s[6:7]
	v_add_u32_e32 v0, 0x400, v199
	s_waitcnt lgkmcnt(0)
	; wave barrier
	s_waitcnt lgkmcnt(0)
	ds_read2_b64 v[10:13], v0 offset0:124 offset1:187
	v_add_u32_e32 v0, 0xc00, v199
	ds_read2_b64 v[14:17], v0 offset0:120 offset1:183
	v_add_u32_e32 v114, 0x1400, v199
	ds_read2_b64 v[18:21], v114 offset0:116 offset1:179
	s_waitcnt lgkmcnt(2)
	v_mul_f32_e32 v4, v41, v11
	v_mul_f32_e32 v5, v41, v10
	v_fmac_f32_e32 v4, v40, v10
	v_fma_f32 v5, v40, v11, -v5
	s_waitcnt lgkmcnt(1)
	v_mul_f32_e32 v10, v43, v15
	v_mul_f32_e32 v11, v43, v14
	v_fmac_f32_e32 v10, v42, v14
	v_fma_f32 v11, v42, v15, -v11
	s_waitcnt lgkmcnt(0)
	v_mul_f32_e32 v14, v37, v19
	v_mul_f32_e32 v15, v37, v18
	v_add_u32_e32 v0, 0x1c00, v199
	v_add_u32_e32 v115, 0x800, v199
	v_fmac_f32_e32 v14, v36, v18
	v_fma_f32 v15, v36, v19, -v15
	v_mul_f32_e32 v36, v49, v13
	ds_read2_b64 v[6:9], v199 offset1:63
	ds_read2_b64 v[22:25], v0 offset0:112 offset1:175
	ds_read2_b64 v[0:3], v199 offset0:126 offset1:189
	;; [unrolled: 1-line block ×3, first 2 shown]
	v_add_u32_e32 v116, 0x1000, v199
	v_fmac_f32_e32 v36, v48, v12
	v_mul_f32_e32 v12, v49, v12
	ds_read2_b64 v[30:33], v116 offset0:118 offset1:181
	v_add_u32_e32 v117, 0x1800, v199
	v_fma_f32 v12, v48, v13, -v12
	v_mul_f32_e32 v13, v51, v17
	ds_read2_b64 v[106:109], v117 offset0:114 offset1:177
	v_add_u32_e32 v118, 0x2000, v199
	v_fmac_f32_e32 v13, v50, v16
	v_mul_f32_e32 v16, v51, v16
	ds_read2_b64 v[110:113], v118 offset0:110 offset1:173
	v_fma_f32 v37, v50, v17, -v16
	v_mul_f32_e32 v16, v45, v20
	s_waitcnt lgkmcnt(5)
	v_mul_f32_e32 v34, v39, v23
	v_mul_f32_e32 v18, v39, v22
	v_fma_f32 v39, v44, v21, -v16
	v_mul_f32_e32 v16, v47, v24
	v_fma_f32 v41, v46, v25, -v16
	s_waitcnt lgkmcnt(3)
	v_mul_f32_e32 v16, v57, v26
	v_add_f32_e32 v17, v10, v14
	v_fmac_f32_e32 v34, v38, v22
	v_fma_f32 v35, v38, v23, -v18
	v_mul_f32_e32 v38, v45, v21
	v_fma_f32 v43, v56, v27, -v16
	s_waitcnt lgkmcnt(2)
	v_mul_f32_e32 v16, v59, v30
	v_fma_f32 v18, -0.5, v17, v6
	v_fmac_f32_e32 v38, v44, v20
	v_fma_f32 v45, v58, v31, -v16
	s_waitcnt lgkmcnt(1)
	v_mul_f32_e32 v16, v53, v106
	v_sub_f32_e32 v17, v5, v35
	v_mov_b32_e32 v20, v18
	v_mul_f32_e32 v40, v47, v25
	v_fma_f32 v47, v52, v107, -v16
	s_waitcnt lgkmcnt(0)
	v_mul_f32_e32 v16, v55, v110
	v_fmac_f32_e32 v20, 0xbf737871, v17
	v_sub_f32_e32 v19, v11, v15
	v_sub_f32_e32 v21, v4, v10
	;; [unrolled: 1-line block ×3, first 2 shown]
	v_fmac_f32_e32 v18, 0x3f737871, v17
	v_fma_f32 v49, v54, v111, -v16
	v_mul_f32_e32 v16, v65, v28
	v_fmac_f32_e32 v20, 0xbf167918, v19
	v_add_f32_e32 v21, v21, v22
	v_fmac_f32_e32 v18, 0x3f167918, v19
	v_fma_f32 v51, v64, v29, -v16
	v_mul_f32_e32 v16, v67, v32
	v_fmac_f32_e32 v20, 0x3e9e377a, v21
	v_fmac_f32_e32 v18, 0x3e9e377a, v21
	v_add_f32_e32 v21, v4, v34
	v_fmac_f32_e32 v40, v46, v24
	v_mul_f32_e32 v46, v53, v107
	v_fma_f32 v53, v66, v33, -v16
	v_mul_f32_e32 v16, v61, v108
	v_fma_f32 v22, -0.5, v21, v6
	v_mul_f32_e32 v48, v55, v111
	v_fma_f32 v55, v60, v109, -v16
	v_mul_f32_e32 v16, v63, v112
	v_mov_b32_e32 v24, v22
	v_mul_f32_e32 v42, v57, v27
	v_fma_f32 v57, v62, v113, -v16
	v_add_f32_e32 v16, v6, v4
	v_fmac_f32_e32 v24, 0x3f737871, v19
	v_sub_f32_e32 v6, v10, v4
	v_sub_f32_e32 v21, v14, v34
	v_fmac_f32_e32 v22, 0xbf737871, v19
	v_fmac_f32_e32 v24, 0xbf167918, v17
	v_add_f32_e32 v6, v6, v21
	v_fmac_f32_e32 v22, 0x3f167918, v17
	v_fmac_f32_e32 v24, 0x3e9e377a, v6
	;; [unrolled: 1-line block ×3, first 2 shown]
	v_add_f32_e32 v6, v7, v5
	v_add_f32_e32 v6, v6, v11
	;; [unrolled: 1-line block ×5, first 2 shown]
	v_fma_f32 v19, -0.5, v6, v7
	v_add_f32_e32 v16, v16, v10
	v_sub_f32_e32 v4, v4, v34
	v_mov_b32_e32 v21, v19
	v_add_f32_e32 v16, v16, v14
	v_fmac_f32_e32 v21, 0x3f737871, v4
	v_sub_f32_e32 v6, v10, v14
	v_sub_f32_e32 v10, v5, v11
	;; [unrolled: 1-line block ×3, first 2 shown]
	v_fmac_f32_e32 v19, 0xbf737871, v4
	v_fmac_f32_e32 v21, 0x3f167918, v6
	v_add_f32_e32 v10, v10, v14
	v_fmac_f32_e32 v19, 0xbf167918, v6
	v_fmac_f32_e32 v21, 0x3e9e377a, v10
	;; [unrolled: 1-line block ×3, first 2 shown]
	v_add_f32_e32 v10, v5, v35
	v_fma_f32 v23, -0.5, v10, v7
	v_mov_b32_e32 v25, v23
	v_fmac_f32_e32 v25, 0xbf737871, v6
	v_fmac_f32_e32 v23, 0x3f737871, v6
	;; [unrolled: 1-line block ×4, first 2 shown]
	v_add_f32_e32 v4, v8, v36
	v_add_f32_e32 v4, v4, v13
	;; [unrolled: 1-line block ×3, first 2 shown]
	v_fmac_f32_e32 v42, v56, v26
	v_mul_f32_e32 v50, v65, v29
	v_add_f32_e32 v26, v4, v40
	v_add_f32_e32 v4, v13, v38
	v_mul_f32_e32 v44, v59, v31
	v_fmac_f32_e32 v50, v64, v28
	v_sub_f32_e32 v5, v11, v5
	v_sub_f32_e32 v7, v15, v35
	v_fma_f32 v28, -0.5, v4, v8
	v_fmac_f32_e32 v44, v58, v30
	v_add_f32_e32 v5, v5, v7
	v_sub_f32_e32 v4, v12, v41
	v_mov_b32_e32 v30, v28
	v_fmac_f32_e32 v25, 0x3e9e377a, v5
	v_fmac_f32_e32 v23, 0x3e9e377a, v5
	;; [unrolled: 1-line block ×3, first 2 shown]
	v_sub_f32_e32 v5, v37, v39
	v_sub_f32_e32 v6, v36, v13
	;; [unrolled: 1-line block ×3, first 2 shown]
	v_fmac_f32_e32 v28, 0x3f737871, v4
	v_fmac_f32_e32 v30, 0xbf167918, v5
	v_add_f32_e32 v6, v6, v7
	v_fmac_f32_e32 v28, 0x3f167918, v5
	v_fmac_f32_e32 v30, 0x3e9e377a, v6
	;; [unrolled: 1-line block ×3, first 2 shown]
	v_add_f32_e32 v6, v36, v40
	v_fmac_f32_e32 v46, v52, v106
	v_mul_f32_e32 v52, v67, v33
	v_fma_f32 v8, -0.5, v6, v8
	v_fmac_f32_e32 v52, v66, v32
	v_mov_b32_e32 v32, v8
	v_fmac_f32_e32 v32, 0x3f737871, v5
	v_fmac_f32_e32 v8, 0xbf737871, v5
	;; [unrolled: 1-line block ×4, first 2 shown]
	v_add_f32_e32 v4, v9, v12
	v_add_f32_e32 v4, v4, v37
	;; [unrolled: 1-line block ×5, first 2 shown]
	v_sub_f32_e32 v6, v13, v36
	v_sub_f32_e32 v7, v38, v40
	v_fma_f32 v29, -0.5, v4, v9
	v_add_f32_e32 v6, v6, v7
	v_sub_f32_e32 v4, v36, v40
	v_mov_b32_e32 v31, v29
	v_fmac_f32_e32 v32, 0x3e9e377a, v6
	v_fmac_f32_e32 v8, 0x3e9e377a, v6
	;; [unrolled: 1-line block ×3, first 2 shown]
	v_sub_f32_e32 v5, v13, v38
	v_sub_f32_e32 v6, v12, v37
	;; [unrolled: 1-line block ×3, first 2 shown]
	v_fmac_f32_e32 v29, 0xbf737871, v4
	v_fmac_f32_e32 v31, 0x3f167918, v5
	v_add_f32_e32 v6, v6, v7
	v_fmac_f32_e32 v29, 0xbf167918, v5
	v_fmac_f32_e32 v31, 0x3e9e377a, v6
	;; [unrolled: 1-line block ×3, first 2 shown]
	v_add_f32_e32 v6, v12, v41
	v_fmac_f32_e32 v9, -0.5, v6
	v_mov_b32_e32 v33, v9
	v_fmac_f32_e32 v33, 0xbf737871, v5
	v_fmac_f32_e32 v9, 0x3f737871, v5
	;; [unrolled: 1-line block ×4, first 2 shown]
	v_add_f32_e32 v4, v0, v42
	v_add_f32_e32 v4, v4, v44
	v_fmac_f32_e32 v48, v54, v110
	v_add_f32_e32 v4, v4, v46
	v_add_f32_e32 v16, v16, v34
	;; [unrolled: 1-line block ×4, first 2 shown]
	v_sub_f32_e32 v6, v37, v12
	v_sub_f32_e32 v7, v39, v41
	v_fma_f32 v4, -0.5, v4, v0
	v_add_f32_e32 v6, v6, v7
	v_sub_f32_e32 v5, v43, v49
	v_mov_b32_e32 v36, v4
	v_fmac_f32_e32 v33, 0x3e9e377a, v6
	v_fmac_f32_e32 v9, 0x3e9e377a, v6
	;; [unrolled: 1-line block ×3, first 2 shown]
	v_sub_f32_e32 v6, v45, v47
	v_sub_f32_e32 v7, v42, v44
	;; [unrolled: 1-line block ×3, first 2 shown]
	v_fmac_f32_e32 v4, 0x3f737871, v5
	v_fmac_f32_e32 v36, 0xbf167918, v6
	v_add_f32_e32 v7, v7, v10
	v_fmac_f32_e32 v4, 0x3f167918, v6
	v_fmac_f32_e32 v36, 0x3e9e377a, v7
	;; [unrolled: 1-line block ×3, first 2 shown]
	v_add_f32_e32 v7, v42, v48
	v_fma_f32 v0, -0.5, v7, v0
	v_mov_b32_e32 v38, v0
	v_fmac_f32_e32 v38, 0x3f737871, v6
	v_fmac_f32_e32 v0, 0xbf737871, v6
	;; [unrolled: 1-line block ×4, first 2 shown]
	v_add_f32_e32 v5, v1, v43
	v_add_f32_e32 v5, v5, v45
	;; [unrolled: 1-line block ×5, first 2 shown]
	v_sub_f32_e32 v7, v44, v42
	v_sub_f32_e32 v10, v46, v48
	v_fma_f32 v5, -0.5, v5, v1
	v_add_f32_e32 v7, v7, v10
	v_sub_f32_e32 v6, v42, v48
	v_mov_b32_e32 v37, v5
	v_fmac_f32_e32 v38, 0x3e9e377a, v7
	v_fmac_f32_e32 v0, 0x3e9e377a, v7
	;; [unrolled: 1-line block ×3, first 2 shown]
	v_sub_f32_e32 v7, v44, v46
	v_sub_f32_e32 v10, v43, v45
	;; [unrolled: 1-line block ×3, first 2 shown]
	v_fmac_f32_e32 v5, 0xbf737871, v6
	v_fmac_f32_e32 v37, 0x3f167918, v7
	v_add_f32_e32 v10, v10, v11
	v_fmac_f32_e32 v5, 0xbf167918, v7
	v_fmac_f32_e32 v37, 0x3e9e377a, v10
	;; [unrolled: 1-line block ×3, first 2 shown]
	v_add_f32_e32 v10, v43, v49
	v_fma_f32 v1, -0.5, v10, v1
	v_mul_f32_e32 v54, v61, v109
	v_mov_b32_e32 v39, v1
	v_fmac_f32_e32 v54, v60, v108
	v_fmac_f32_e32 v39, 0xbf737871, v7
	v_sub_f32_e32 v10, v45, v43
	v_sub_f32_e32 v11, v47, v49
	v_fmac_f32_e32 v1, 0x3f737871, v7
	v_fmac_f32_e32 v39, 0x3f167918, v6
	v_add_f32_e32 v10, v10, v11
	v_fmac_f32_e32 v1, 0xbf167918, v6
	v_add_f32_e32 v7, v52, v54
	v_mul_f32_e32 v56, v63, v113
	v_fmac_f32_e32 v39, 0x3e9e377a, v10
	v_fmac_f32_e32 v1, 0x3e9e377a, v10
	v_fma_f32 v10, -0.5, v7, v2
	v_fmac_f32_e32 v56, v62, v112
	v_sub_f32_e32 v7, v51, v57
	v_mov_b32_e32 v12, v10
	v_fmac_f32_e32 v12, 0xbf737871, v7
	v_sub_f32_e32 v11, v53, v55
	v_sub_f32_e32 v13, v50, v52
	;; [unrolled: 1-line block ×3, first 2 shown]
	v_fmac_f32_e32 v10, 0x3f737871, v7
	v_fmac_f32_e32 v12, 0xbf167918, v11
	v_add_f32_e32 v13, v13, v14
	v_fmac_f32_e32 v10, 0x3f167918, v11
	v_fmac_f32_e32 v12, 0x3e9e377a, v13
	;; [unrolled: 1-line block ×3, first 2 shown]
	v_add_f32_e32 v13, v50, v56
	v_add_f32_e32 v6, v2, v50
	v_fma_f32 v2, -0.5, v13, v2
	v_mov_b32_e32 v14, v2
	v_fmac_f32_e32 v14, 0x3f737871, v11
	v_sub_f32_e32 v13, v52, v50
	v_sub_f32_e32 v15, v54, v56
	v_fmac_f32_e32 v2, 0xbf737871, v11
	v_add_f32_e32 v11, v53, v55
	v_fmac_f32_e32 v14, 0xbf167918, v7
	v_add_f32_e32 v13, v13, v15
	v_fmac_f32_e32 v2, 0x3f167918, v7
	v_fma_f32 v11, -0.5, v11, v3
	v_fmac_f32_e32 v14, 0x3e9e377a, v13
	v_fmac_f32_e32 v2, 0x3e9e377a, v13
	v_sub_f32_e32 v40, v50, v56
	v_mov_b32_e32 v13, v11
	v_fmac_f32_e32 v13, 0x3f737871, v40
	v_sub_f32_e32 v41, v52, v54
	v_sub_f32_e32 v15, v51, v53
	;; [unrolled: 1-line block ×3, first 2 shown]
	v_fmac_f32_e32 v11, 0xbf737871, v40
	v_fmac_f32_e32 v13, 0x3f167918, v41
	v_add_f32_e32 v15, v15, v42
	v_fmac_f32_e32 v11, 0xbf167918, v41
	v_fmac_f32_e32 v13, 0x3e9e377a, v15
	;; [unrolled: 1-line block ×3, first 2 shown]
	v_add_f32_e32 v15, v51, v57
	v_add_f32_e32 v7, v3, v51
	v_fmac_f32_e32 v3, -0.5, v15
	v_mov_b32_e32 v15, v3
	v_add_f32_e32 v6, v6, v52
	v_add_f32_e32 v7, v7, v53
	v_fmac_f32_e32 v15, 0xbf737871, v41
	v_sub_f32_e32 v42, v53, v51
	v_sub_f32_e32 v43, v55, v57
	v_fmac_f32_e32 v3, 0x3f737871, v41
	v_add_f32_e32 v6, v6, v54
	v_add_f32_e32 v7, v7, v55
	v_fmac_f32_e32 v15, 0x3f167918, v40
	v_add_f32_e32 v42, v42, v43
	v_fmac_f32_e32 v3, 0xbf167918, v40
	v_add_f32_e32 v6, v6, v56
	v_add_f32_e32 v7, v7, v57
	v_fmac_f32_e32 v15, 0x3e9e377a, v42
	v_fmac_f32_e32 v3, 0x3e9e377a, v42
	s_waitcnt lgkmcnt(0)
	; wave barrier
	ds_write2_b64 v239, v[16:17], v[20:21] offset1:36
	ds_write2_b64 v239, v[24:25], v[22:23] offset0:72 offset1:108
	ds_write_b64 v239, v[18:19] offset:1152
	ds_write2_b64 v240, v[26:27], v[30:31] offset1:36
	ds_write2_b64 v240, v[32:33], v[8:9] offset0:72 offset1:108
	ds_write_b64 v240, v[28:29] offset:1152
	;; [unrolled: 3-line block ×4, first 2 shown]
	s_waitcnt lgkmcnt(0)
	; wave barrier
	s_waitcnt lgkmcnt(0)
	ds_read2_b64 v[16:19], v199 offset1:63
	ds_read2_b64 v[40:43], v199 offset0:180 offset1:243
	ds_read2_b64 v[36:39], v115 offset0:104 offset1:167
	;; [unrolled: 1-line block ×6, first 2 shown]
	s_and_saveexec_b64 s[0:1], s[2:3]
	s_cbranch_execz .LBB0_23
; %bb.22:
	v_add_u32_e32 v0, 0x200, v199
	ds_read2_b64 v[4:7], v0 offset0:62 offset1:242
	v_add_u32_e32 v1, 0x1a00, v199
	v_add_u32_e32 v0, 0xe00, v199
	ds_read2_b64 v[8:11], v1 offset0:14 offset1:194
	ds_read2_b64 v[12:15], v0 offset0:38 offset1:218
	ds_read_b64 v[104:105], v199 offset:9648
	s_waitcnt lgkmcnt(2)
	v_mov_b32_e32 v2, v8
	v_mov_b32_e32 v3, v9
.LBB0_23:
	s_or_b64 exec, exec, s[0:1]
	s_waitcnt lgkmcnt(4)
	v_mul_f32_e32 v8, v99, v37
	v_fmac_f32_e32 v8, v98, v36
	v_mul_f32_e32 v9, v99, v36
	s_waitcnt lgkmcnt(3)
	v_mul_f32_e32 v36, v89, v33
	v_fmac_f32_e32 v36, v88, v32
	v_mul_f32_e32 v32, v89, v32
	v_fma_f32 v32, v88, v33, -v32
	s_waitcnt lgkmcnt(2)
	v_mul_f32_e32 v33, v91, v29
	v_fmac_f32_e32 v33, v90, v28
	v_mul_f32_e32 v28, v91, v28
	v_fma_f32 v28, v90, v29, -v28
	;; [unrolled: 5-line block ×3, first 2 shown]
	s_waitcnt lgkmcnt(0)
	v_mul_f32_e32 v25, v83, v21
	v_fmac_f32_e32 v25, v82, v20
	v_mul_f32_e32 v20, v83, v20
	v_mul_f32_e32 v0, v97, v41
	;; [unrolled: 1-line block ×3, first 2 shown]
	v_fma_f32 v20, v82, v21, -v20
	v_mul_f32_e32 v21, v101, v42
	v_fmac_f32_e32 v0, v96, v40
	v_fma_f32 v1, v96, v41, -v1
	v_fma_f32 v40, v100, v43, -v21
	v_mul_f32_e32 v41, v103, v39
	v_mul_f32_e32 v21, v103, v38
	v_fmac_f32_e32 v41, v102, v38
	v_fma_f32 v38, v102, v39, -v21
	v_mul_f32_e32 v39, v93, v35
	v_mul_f32_e32 v21, v93, v34
	v_fmac_f32_e32 v39, v92, v34
	v_fma_f32 v34, v92, v35, -v21
	v_mul_f32_e32 v35, v95, v31
	v_mul_f32_e32 v21, v95, v30
	v_fma_f32 v9, v98, v37, -v9
	v_mul_f32_e32 v37, v101, v43
	v_fmac_f32_e32 v35, v94, v30
	v_fma_f32 v30, v94, v31, -v21
	v_mul_f32_e32 v21, v85, v26
	v_fmac_f32_e32 v37, v100, v42
	v_fma_f32 v42, v84, v27, -v21
	v_mul_f32_e32 v43, v87, v23
	v_mul_f32_e32 v21, v87, v22
	;; [unrolled: 1-line block ×3, first 2 shown]
	v_fmac_f32_e32 v43, v86, v22
	v_fma_f32 v44, v86, v23, -v21
	v_add_f32_e32 v21, v0, v25
	v_add_f32_e32 v22, v1, v20
	v_sub_f32_e32 v1, v1, v20
	v_add_f32_e32 v20, v8, v29
	v_fmac_f32_e32 v31, v84, v26
	v_sub_f32_e32 v0, v0, v25
	v_add_f32_e32 v23, v9, v24
	v_sub_f32_e32 v8, v8, v29
	v_sub_f32_e32 v9, v9, v24
	v_add_f32_e32 v24, v36, v33
	v_add_f32_e32 v25, v32, v28
	v_sub_f32_e32 v26, v33, v36
	v_sub_f32_e32 v27, v28, v32
	v_add_f32_e32 v28, v20, v21
	v_add_f32_e32 v29, v23, v22
	v_sub_f32_e32 v32, v20, v21
	v_sub_f32_e32 v21, v21, v24
	v_sub_f32_e32 v20, v24, v20
	v_add_f32_e32 v36, v26, v8
	v_add_f32_e32 v24, v24, v28
	v_sub_f32_e32 v33, v23, v22
	v_sub_f32_e32 v22, v22, v25
	;; [unrolled: 1-line block ×3, first 2 shown]
	v_add_f32_e32 v45, v27, v9
	v_sub_f32_e32 v46, v26, v8
	v_sub_f32_e32 v26, v0, v26
	;; [unrolled: 1-line block ×3, first 2 shown]
	v_add_f32_e32 v25, v25, v29
	v_add_f32_e32 v28, v36, v0
	v_add_f32_e32 v0, v16, v24
	v_sub_f32_e32 v47, v27, v9
	v_sub_f32_e32 v27, v1, v27
	;; [unrolled: 1-line block ×3, first 2 shown]
	v_add_f32_e32 v29, v45, v1
	v_add_f32_e32 v1, v17, v25
	v_mov_b32_e32 v48, v0
	v_mul_f32_e32 v16, 0x3f4a47b2, v21
	v_mul_f32_e32 v17, 0x3f4a47b2, v22
	;; [unrolled: 1-line block ×5, first 2 shown]
	s_mov_b32 s6, 0xbf5ff5aa
	v_mul_f32_e32 v47, 0xbf5ff5aa, v9
	v_fmac_f32_e32 v48, 0xbf955555, v24
	v_mov_b32_e32 v24, v1
	s_mov_b32 s7, 0x3f3bfb3b
	s_mov_b32 s12, 0xbf3bfb3b
	;; [unrolled: 1-line block ×3, first 2 shown]
	v_mul_f32_e32 v22, 0x3d64c772, v23
	v_mul_f32_e32 v46, 0xbf5ff5aa, v8
	v_fmac_f32_e32 v24, 0xbf955555, v25
	v_fma_f32 v21, v32, s7, -v21
	v_fma_f32 v25, v32, s12, -v16
	v_fmac_f32_e32 v16, 0x3d64c772, v20
	v_fma_f32 v20, v33, s12, -v17
	v_fmac_f32_e32 v17, 0x3d64c772, v23
	;; [unrolled: 2-line block ×4, first 2 shown]
	v_fma_f32 v27, v27, s13, -v47
	v_fma_f32 v22, v33, s7, -v22
	;; [unrolled: 1-line block ×3, first 2 shown]
	v_add_f32_e32 v46, v17, v24
	v_add_f32_e32 v25, v25, v48
	v_fmac_f32_e32 v36, 0xbee1c552, v28
	v_fmac_f32_e32 v27, 0xbee1c552, v29
	v_add_f32_e32 v33, v16, v48
	v_add_f32_e32 v47, v21, v48
	;; [unrolled: 1-line block ×4, first 2 shown]
	v_fmac_f32_e32 v45, 0xbee1c552, v29
	v_fmac_f32_e32 v23, 0xbee1c552, v28
	;; [unrolled: 1-line block ×4, first 2 shown]
	v_sub_f32_e32 v9, v46, v36
	v_add_f32_e32 v16, v27, v25
	v_sub_f32_e32 v24, v25, v27
	v_add_f32_e32 v27, v36, v46
	v_add_f32_e32 v28, v37, v43
	;; [unrolled: 1-line block ×4, first 2 shown]
	v_sub_f32_e32 v17, v48, v26
	v_sub_f32_e32 v20, v47, v32
	v_add_f32_e32 v22, v32, v47
	v_add_f32_e32 v25, v26, v48
	v_sub_f32_e32 v26, v33, v45
	v_add_f32_e32 v29, v40, v44
	v_sub_f32_e32 v32, v37, v43
	v_sub_f32_e32 v33, v40, v44
	v_add_f32_e32 v37, v38, v42
	v_sub_f32_e32 v31, v41, v31
	v_add_f32_e32 v40, v39, v35
	v_add_f32_e32 v41, v34, v30
	v_sub_f32_e32 v30, v30, v34
	v_add_f32_e32 v34, v36, v28
	v_sub_f32_e32 v35, v35, v39
	v_add_f32_e32 v39, v37, v29
	v_add_f32_e32 v34, v40, v34
	v_sub_f32_e32 v38, v38, v42
	v_add_f32_e32 v39, v41, v39
	v_add_f32_e32 v18, v18, v34
	v_sub_f32_e32 v42, v36, v28
	v_sub_f32_e32 v43, v37, v29
	;; [unrolled: 1-line block ×6, first 2 shown]
	v_add_f32_e32 v44, v35, v31
	v_add_f32_e32 v45, v30, v38
	v_sub_f32_e32 v46, v35, v31
	v_sub_f32_e32 v47, v30, v38
	;; [unrolled: 1-line block ×4, first 2 shown]
	v_add_f32_e32 v19, v19, v39
	v_mov_b32_e32 v48, v18
	v_sub_f32_e32 v35, v32, v35
	v_sub_f32_e32 v30, v33, v30
	v_add_f32_e32 v32, v44, v32
	v_add_f32_e32 v33, v45, v33
	v_mul_f32_e32 v28, 0x3f4a47b2, v28
	v_mul_f32_e32 v29, 0x3f4a47b2, v29
	;; [unrolled: 1-line block ×8, first 2 shown]
	v_fmac_f32_e32 v48, 0xbf955555, v34
	v_mov_b32_e32 v34, v19
	v_fmac_f32_e32 v34, 0xbf955555, v39
	v_fma_f32 v39, v42, s7, -v40
	v_fma_f32 v40, v43, s7, -v41
	;; [unrolled: 1-line block ×3, first 2 shown]
	v_fmac_f32_e32 v28, 0x3d64c772, v36
	v_fma_f32 v36, v43, s12, -v29
	v_fmac_f32_e32 v29, 0x3d64c772, v37
	v_fma_f32 v37, v31, s6, -v44
	;; [unrolled: 2-line block ×4, first 2 shown]
	v_fma_f32 v43, v30, s13, -v47
	v_add_f32_e32 v46, v28, v48
	v_add_f32_e32 v47, v29, v34
	;; [unrolled: 1-line block ×6, first 2 shown]
	v_fmac_f32_e32 v44, 0xbee1c552, v32
	v_fmac_f32_e32 v45, 0xbee1c552, v33
	;; [unrolled: 1-line block ×6, first 2 shown]
	v_add_f32_e32 v21, v23, v49
	v_sub_f32_e32 v23, v49, v23
	v_add_f32_e32 v28, v45, v46
	v_sub_f32_e32 v29, v47, v44
	;; [unrolled: 2-line block ×3, first 2 shown]
	v_sub_f32_e32 v32, v35, v38
	v_add_f32_e32 v33, v37, v39
	v_add_f32_e32 v34, v38, v35
	v_sub_f32_e32 v35, v39, v37
	v_sub_f32_e32 v36, v40, v43
	v_add_f32_e32 v37, v42, v41
	v_sub_f32_e32 v38, v46, v45
	v_add_f32_e32 v39, v44, v47
	ds_write_b64 v199, v[8:9] offset:1440
	ds_write_b64 v199, v[16:17] offset:2880
	;; [unrolled: 1-line block ×6, first 2 shown]
	ds_write2_b64 v199, v[0:1], v[18:19] offset1:63
	ds_write_b64 v199, v[28:29] offset:1944
	ds_write_b64 v199, v[30:31] offset:3384
	;; [unrolled: 1-line block ×6, first 2 shown]
	s_and_saveexec_b64 s[0:1], s[2:3]
	s_cbranch_execz .LBB0_25
; %bb.24:
	v_mul_f32_e32 v0, v77, v7
	v_mul_f32_e32 v8, v71, v105
	;; [unrolled: 1-line block ×6, first 2 shown]
	v_fmac_f32_e32 v0, v76, v6
	v_fmac_f32_e32 v8, v70, v104
	;; [unrolled: 1-line block ×6, first 2 shown]
	v_sub_f32_e32 v9, v0, v8
	v_sub_f32_e32 v1, v16, v17
	;; [unrolled: 1-line block ×5, first 2 shown]
	v_add_f32_e32 v1, v1, v21
	v_add_f32_e32 v24, v1, v9
	v_mul_f32_e32 v1, v71, v104
	v_fma_f32 v25, v70, v105, -v1
	v_mul_f32_e32 v1, v77, v6
	v_fma_f32 v6, v76, v7, -v1
	;; [unrolled: 2-line block ×4, first 2 shown]
	v_add_f32_e32 v7, v25, v6
	v_add_f32_e32 v1, v14, v2
	v_sub_f32_e32 v3, v7, v1
	v_mul_f32_e32 v15, 0x3f4a47b2, v3
	v_mul_f32_e32 v3, v69, v10
	v_fma_f32 v10, v68, v11, -v3
	v_mul_f32_e32 v3, v79, v12
	v_fma_f32 v11, v78, v13, -v3
	v_add_f32_e32 v12, v10, v11
	v_sub_f32_e32 v3, v1, v12
	v_mov_b32_e32 v26, v15
	v_mul_f32_e32 v13, 0x3d64c772, v3
	v_fmac_f32_e32 v26, 0x3d64c772, v3
	v_add_f32_e32 v3, v12, v7
	v_add_f32_e32 v3, v1, v3
	;; [unrolled: 1-line block ×5, first 2 shown]
	v_sub_f32_e32 v5, v8, v0
	v_mul_f32_e32 v16, 0x3f4a47b2, v5
	v_add_f32_e32 v17, v20, v19
	v_sub_f32_e32 v5, v0, v17
	v_mov_b32_e32 v20, v16
	v_mul_f32_e32 v19, 0x3d64c772, v5
	v_fmac_f32_e32 v20, 0x3d64c772, v5
	v_add_f32_e32 v5, v17, v8
	v_add_f32_e32 v5, v0, v5
	;; [unrolled: 1-line block ×3, first 2 shown]
	v_mov_b32_e32 v28, v0
	v_sub_f32_e32 v2, v2, v14
	v_sub_f32_e32 v10, v11, v10
	v_fmac_f32_e32 v28, 0xbf955555, v5
	v_sub_f32_e32 v4, v6, v25
	v_sub_f32_e32 v5, v2, v10
	v_mul_f32_e32 v22, 0x3f08b237, v22
	v_sub_f32_e32 v6, v4, v2
	v_mul_f32_e32 v11, 0x3f08b237, v5
	v_add_f32_e32 v2, v2, v10
	v_sub_f32_e32 v9, v21, v9
	v_sub_f32_e32 v10, v10, v4
	v_mov_b32_e32 v23, v22
	v_mov_b32_e32 v27, v1
	;; [unrolled: 1-line block ×3, first 2 shown]
	v_add_f32_e32 v25, v2, v4
	v_mul_f32_e32 v5, 0xbf5ff5aa, v9
	v_sub_f32_e32 v7, v12, v7
	v_sub_f32_e32 v8, v17, v8
	v_mul_f32_e32 v4, 0xbf5ff5aa, v10
	v_fmac_f32_e32 v23, 0xbeae86e6, v18
	v_fmac_f32_e32 v27, 0xbf955555, v3
	;; [unrolled: 1-line block ×3, first 2 shown]
	v_fma_f32 v18, v18, s13, -v5
	v_fma_f32 v5, v7, s12, -v15
	;; [unrolled: 1-line block ×6, first 2 shown]
	v_fmac_f32_e32 v23, 0xbee1c552, v24
	v_add_f32_e32 v26, v26, v27
	v_add_f32_e32 v20, v20, v28
	v_fmac_f32_e32 v14, 0xbee1c552, v25
	v_fmac_f32_e32 v18, 0xbee1c552, v24
	v_add_f32_e32 v12, v5, v27
	v_add_f32_e32 v13, v6, v27
	v_fmac_f32_e32 v9, 0xbee1c552, v24
	v_fma_f32 v10, v10, s6, -v11
	v_fma_f32 v6, v8, s7, -v19
	v_sub_f32_e32 v2, v20, v14
	v_add_f32_e32 v5, v18, v12
	v_add_f32_e32 v15, v15, v28
	v_fmac_f32_e32 v16, 0xbee1c552, v25
	v_sub_f32_e32 v7, v13, v9
	v_fmac_f32_e32 v10, 0xbee1c552, v25
	v_add_f32_e32 v8, v6, v28
	v_add_f32_e32 v9, v9, v13
	v_sub_f32_e32 v11, v12, v18
	v_sub_f32_e32 v13, v26, v23
	v_add_f32_e32 v12, v14, v20
	v_add_u32_e32 v14, 0x200, v199
	v_add_f32_e32 v6, v10, v8
	v_sub_f32_e32 v8, v8, v10
	v_add_f32_e32 v10, v16, v15
	ds_write2_b64 v14, v[0:1], v[12:13] offset0:62 offset1:242
	v_add_u32_e32 v0, 0xe00, v199
	v_sub_f32_e32 v4, v15, v16
	ds_write2_b64 v0, v[10:11], v[8:9] offset0:38 offset1:218
	v_add_u32_e32 v0, 0x1a00, v199
	v_add_f32_e32 v3, v23, v26
	ds_write2_b64 v0, v[6:7], v[4:5] offset0:14 offset1:194
	ds_write_b64 v199, v[2:3] offset:9648
.LBB0_25:
	s_or_b64 exec, exec, s[0:1]
	s_waitcnt lgkmcnt(0)
	; wave barrier
	s_waitcnt lgkmcnt(0)
	ds_read2_b64 v[0:3], v199 offset1:63
	v_mad_u64_u32 v[8:9], s[0:1], s10, v146, 0
	s_mov_b32 s0, 0x1a01a01a
	s_mov_b32 s1, 0x3f4a01a0
	s_waitcnt lgkmcnt(0)
	v_mul_f32_e32 v4, v168, v1
	v_fmac_f32_e32 v4, v167, v0
	v_cvt_f64_f32_e32 v[4:5], v4
	v_mul_f32_e32 v0, v168, v0
	v_fma_f32 v0, v167, v1, -v0
	v_cvt_f64_f32_e32 v[0:1], v0
	v_mul_f64 v[4:5], v[4:5], s[0:1]
	v_mad_u64_u32 v[10:11], s[2:3], s8, v200, 0
	v_mov_b32_e32 v6, v9
	v_mad_u64_u32 v[6:7], s[2:3], s11, v146, v[6:7]
	v_mul_f64 v[0:1], v[0:1], s[0:1]
	v_cvt_f32_f64_e32 v12, v[4:5]
	v_mov_b32_e32 v4, v11
	v_mad_u64_u32 v[14:15], s[2:3], s9, v200, v[4:5]
	v_add_u32_e32 v4, 0x1000, v199
	v_mov_b32_e32 v9, v6
	ds_read2_b64 v[4:7], v4 offset0:118 offset1:181
	v_cvt_f32_f64_e32 v13, v[0:1]
	v_lshlrev_b64 v[0:1], 3, v[8:9]
	v_mov_b32_e32 v11, v14
	v_mov_b32_e32 v14, s5
	s_waitcnt lgkmcnt(0)
	v_mul_f32_e32 v8, v164, v5
	v_fmac_f32_e32 v8, v163, v4
	v_mul_f32_e32 v4, v164, v4
	v_fma_f32 v4, v163, v5, -v4
	v_cvt_f64_f32_e32 v[8:9], v8
	v_cvt_f64_f32_e32 v[4:5], v4
	v_add_co_u32_e32 v15, vcc, s4, v0
	v_addc_co_u32_e32 v14, vcc, v14, v1, vcc
	v_mul_f64 v[0:1], v[8:9], s[0:1]
	v_mul_f64 v[4:5], v[4:5], s[0:1]
	v_lshlrev_b64 v[8:9], 3, v[10:11]
	s_mul_i32 s2, s9, 0x13b0
	v_add_co_u32_e32 v8, vcc, v15, v8
	s_mul_hi_u32 s3, s8, 0x13b0
	v_addc_co_u32_e32 v9, vcc, v14, v9, vcc
	v_cvt_f32_f64_e32 v0, v[0:1]
	v_cvt_f32_f64_e32 v1, v[4:5]
	v_mul_f32_e32 v4, v162, v3
	v_fmac_f32_e32 v4, v161, v2
	v_mul_f32_e32 v2, v162, v2
	v_fma_f32 v2, v161, v3, -v2
	v_cvt_f64_f32_e32 v[4:5], v4
	v_cvt_f64_f32_e32 v[2:3], v2
	s_add_i32 s2, s3, s2
	s_mul_i32 s3, s8, 0x13b0
	v_mul_f64 v[4:5], v[4:5], s[0:1]
	v_mul_f64 v[2:3], v[2:3], s[0:1]
	global_store_dwordx2 v[8:9], v[12:13], off
	v_mov_b32_e32 v10, s2
	v_add_co_u32_e32 v8, vcc, s3, v8
	v_addc_co_u32_e32 v9, vcc, v9, v10, vcc
	global_store_dwordx2 v[8:9], v[0:1], off
	v_cvt_f32_f64_e32 v4, v[4:5]
	v_cvt_f32_f64_e32 v5, v[2:3]
	v_mul_f32_e32 v0, v158, v7
	v_mul_f32_e32 v2, v158, v6
	v_fmac_f32_e32 v0, v157, v6
	v_fma_f32 v2, v157, v7, -v2
	v_cvt_f64_f32_e32 v[0:1], v0
	v_cvt_f64_f32_e32 v[2:3], v2
	s_mul_hi_u32 s5, s8, 0xffffee48
	s_mul_i32 s4, s9, 0xffffee48
	v_mul_f64 v[6:7], v[0:1], s[0:1]
	v_mul_f64 v[10:11], v[2:3], s[0:1]
	ds_read2_b64 v[0:3], v199 offset0:126 offset1:189
	s_sub_i32 s5, s5, s8
	s_add_i32 s4, s5, s4
	s_mul_i32 s5, s8, 0xffffee48
	v_mov_b32_e32 v12, s4
	v_add_co_u32_e32 v8, vcc, s5, v8
	v_addc_co_u32_e32 v9, vcc, v9, v12, vcc
	global_store_dwordx2 v[8:9], v[4:5], off
	s_waitcnt lgkmcnt(0)
	v_mul_f32_e32 v4, v154, v1
	v_fmac_f32_e32 v4, v153, v0
	v_cvt_f64_f32_e32 v[4:5], v4
	v_cvt_f32_f64_e32 v13, v[10:11]
	v_mul_f32_e32 v0, v154, v0
	v_fma_f32 v0, v153, v1, -v0
	v_mul_f64 v[10:11], v[4:5], s[0:1]
	v_add_u32_e32 v4, 0x1400, v199
	v_cvt_f32_f64_e32 v12, v[6:7]
	v_cvt_f64_f32_e32 v[0:1], v0
	ds_read2_b64 v[4:7], v4 offset0:116 offset1:179
	v_mov_b32_e32 v14, s2
	v_add_co_u32_e32 v8, vcc, s3, v8
	v_mul_f64 v[0:1], v[0:1], s[0:1]
	v_cvt_f32_f64_e32 v10, v[10:11]
	s_waitcnt lgkmcnt(0)
	v_mul_f32_e32 v11, v152, v5
	v_fmac_f32_e32 v11, v151, v4
	v_mul_f32_e32 v4, v152, v4
	v_addc_co_u32_e32 v9, vcc, v9, v14, vcc
	v_fma_f32 v4, v151, v5, -v4
	global_store_dwordx2 v[8:9], v[12:13], off
	v_cvt_f64_f32_e32 v[12:13], v11
	v_cvt_f64_f32_e32 v[4:5], v4
	v_cvt_f32_f64_e32 v11, v[0:1]
	v_mov_b32_e32 v14, s4
	v_mul_f64 v[0:1], v[12:13], s[0:1]
	v_mul_f64 v[4:5], v[4:5], s[0:1]
	v_add_co_u32_e32 v8, vcc, s5, v8
	v_addc_co_u32_e32 v9, vcc, v9, v14, vcc
	global_store_dwordx2 v[8:9], v[10:11], off
	v_mul_f32_e32 v10, v148, v3
	v_fmac_f32_e32 v10, v147, v2
	v_cvt_f64_f32_e32 v[10:11], v10
	v_mul_f32_e32 v2, v148, v2
	v_fma_f32 v2, v147, v3, -v2
	v_cvt_f32_f64_e32 v0, v[0:1]
	v_cvt_f32_f64_e32 v1, v[4:5]
	v_cvt_f64_f32_e32 v[2:3], v2
	v_mov_b32_e32 v12, s2
	v_mul_f64 v[4:5], v[10:11], s[0:1]
	v_add_co_u32_e32 v8, vcc, s3, v8
	v_addc_co_u32_e32 v9, vcc, v9, v12, vcc
	global_store_dwordx2 v[8:9], v[0:1], off
	v_mul_f64 v[0:1], v[2:3], s[0:1]
	v_mul_f32_e32 v2, v180, v7
	v_fmac_f32_e32 v2, v179, v6
	v_cvt_f64_f32_e32 v[2:3], v2
	v_cvt_f32_f64_e32 v4, v[4:5]
	v_mul_f32_e32 v5, v180, v6
	v_fma_f32 v5, v179, v7, -v5
	v_cvt_f64_f32_e32 v[6:7], v5
	v_cvt_f32_f64_e32 v5, v[0:1]
	v_add_u32_e32 v0, 0x400, v199
	v_mul_f64 v[10:11], v[2:3], s[0:1]
	ds_read2_b64 v[0:3], v0 offset0:124 offset1:187
	v_mov_b32_e32 v12, s4
	v_add_co_u32_e32 v8, vcc, s5, v8
	v_mul_f64 v[6:7], v[6:7], s[0:1]
	v_addc_co_u32_e32 v9, vcc, v9, v12, vcc
	global_store_dwordx2 v[8:9], v[4:5], off
	s_waitcnt lgkmcnt(0)
	v_mul_f32_e32 v4, v178, v1
	v_fmac_f32_e32 v4, v177, v0
	v_cvt_f64_f32_e32 v[4:5], v4
	v_mul_f32_e32 v0, v178, v0
	v_fma_f32 v0, v177, v1, -v0
	v_cvt_f32_f64_e32 v10, v[10:11]
	v_mul_f64 v[12:13], v[4:5], s[0:1]
	v_add_u32_e32 v4, 0x1800, v199
	v_cvt_f32_f64_e32 v11, v[6:7]
	v_cvt_f64_f32_e32 v[0:1], v0
	ds_read2_b64 v[4:7], v4 offset0:114 offset1:177
	v_mov_b32_e32 v14, s2
	v_add_co_u32_e32 v8, vcc, s3, v8
	v_addc_co_u32_e32 v9, vcc, v9, v14, vcc
	v_mul_f64 v[0:1], v[0:1], s[0:1]
	global_store_dwordx2 v[8:9], v[10:11], off
	s_waitcnt lgkmcnt(0)
	v_mul_f32_e32 v11, v176, v5
	v_fmac_f32_e32 v11, v175, v4
	v_mul_f32_e32 v4, v176, v4
	v_fma_f32 v4, v175, v5, -v4
	v_cvt_f32_f64_e32 v10, v[12:13]
	v_cvt_f64_f32_e32 v[12:13], v11
	v_cvt_f64_f32_e32 v[4:5], v4
	v_cvt_f32_f64_e32 v11, v[0:1]
	v_mov_b32_e32 v14, s4
	v_mul_f64 v[0:1], v[12:13], s[0:1]
	v_mul_f64 v[4:5], v[4:5], s[0:1]
	v_add_co_u32_e32 v8, vcc, s5, v8
	v_addc_co_u32_e32 v9, vcc, v9, v14, vcc
	global_store_dwordx2 v[8:9], v[10:11], off
	v_mul_f32_e32 v10, v174, v3
	v_fmac_f32_e32 v10, v173, v2
	v_cvt_f64_f32_e32 v[10:11], v10
	v_mul_f32_e32 v2, v174, v2
	v_fma_f32 v2, v173, v3, -v2
	v_cvt_f32_f64_e32 v0, v[0:1]
	v_cvt_f32_f64_e32 v1, v[4:5]
	v_cvt_f64_f32_e32 v[2:3], v2
	v_mov_b32_e32 v12, s2
	v_mul_f64 v[4:5], v[10:11], s[0:1]
	v_add_co_u32_e32 v8, vcc, s3, v8
	v_addc_co_u32_e32 v9, vcc, v9, v12, vcc
	global_store_dwordx2 v[8:9], v[0:1], off
	v_mul_f64 v[0:1], v[2:3], s[0:1]
	v_mul_f32_e32 v2, v172, v7
	v_fmac_f32_e32 v2, v171, v6
	v_cvt_f64_f32_e32 v[2:3], v2
	v_cvt_f32_f64_e32 v4, v[4:5]
	v_mul_f32_e32 v5, v172, v6
	v_fma_f32 v5, v171, v7, -v5
	v_cvt_f64_f32_e32 v[6:7], v5
	v_cvt_f32_f64_e32 v5, v[0:1]
	v_add_u32_e32 v0, 0x800, v199
	v_mul_f64 v[10:11], v[2:3], s[0:1]
	ds_read2_b64 v[0:3], v0 offset0:122 offset1:185
	v_mov_b32_e32 v12, s4
	v_add_co_u32_e32 v8, vcc, s5, v8
	v_mul_f64 v[6:7], v[6:7], s[0:1]
	v_addc_co_u32_e32 v9, vcc, v9, v12, vcc
	global_store_dwordx2 v[8:9], v[4:5], off
	s_waitcnt lgkmcnt(0)
	v_mul_f32_e32 v4, v170, v1
	v_fmac_f32_e32 v4, v169, v0
	v_cvt_f64_f32_e32 v[4:5], v4
	v_mul_f32_e32 v0, v170, v0
	v_fma_f32 v0, v169, v1, -v0
	v_cvt_f64_f32_e32 v[0:1], v0
	v_mul_f64 v[12:13], v[4:5], s[0:1]
	v_add_u32_e32 v4, 0x1c00, v199
	v_cvt_f32_f64_e32 v10, v[10:11]
	v_cvt_f32_f64_e32 v11, v[6:7]
	ds_read2_b64 v[4:7], v4 offset0:112 offset1:175
	v_mul_f64 v[0:1], v[0:1], s[0:1]
	v_mov_b32_e32 v14, s2
	v_add_co_u32_e32 v8, vcc, s3, v8
	v_addc_co_u32_e32 v9, vcc, v9, v14, vcc
	global_store_dwordx2 v[8:9], v[10:11], off
	s_waitcnt lgkmcnt(0)
	v_mul_f32_e32 v11, v166, v5
	v_fmac_f32_e32 v11, v165, v4
	v_mul_f32_e32 v4, v166, v4
	v_fma_f32 v4, v165, v5, -v4
	v_cvt_f32_f64_e32 v10, v[12:13]
	v_cvt_f64_f32_e32 v[12:13], v11
	v_cvt_f64_f32_e32 v[4:5], v4
	v_cvt_f32_f64_e32 v11, v[0:1]
	v_mov_b32_e32 v14, s4
	v_mul_f64 v[0:1], v[12:13], s[0:1]
	v_mul_f64 v[4:5], v[4:5], s[0:1]
	v_add_co_u32_e32 v8, vcc, s5, v8
	v_addc_co_u32_e32 v9, vcc, v9, v14, vcc
	global_store_dwordx2 v[8:9], v[10:11], off
	v_mul_f32_e32 v10, v160, v3
	v_fmac_f32_e32 v10, v159, v2
	v_cvt_f64_f32_e32 v[10:11], v10
	v_mul_f32_e32 v2, v160, v2
	v_fma_f32 v2, v159, v3, -v2
	v_cvt_f32_f64_e32 v0, v[0:1]
	v_cvt_f32_f64_e32 v1, v[4:5]
	v_mul_f64 v[4:5], v[10:11], s[0:1]
	v_cvt_f64_f32_e32 v[2:3], v2
	v_mov_b32_e32 v12, s2
	v_add_co_u32_e32 v8, vcc, s3, v8
	v_addc_co_u32_e32 v9, vcc, v9, v12, vcc
	global_store_dwordx2 v[8:9], v[0:1], off
	v_mul_f64 v[0:1], v[2:3], s[0:1]
	v_cvt_f32_f64_e32 v4, v[4:5]
	v_mul_f32_e32 v2, v156, v7
	v_mul_f32_e32 v5, v156, v6
	v_fmac_f32_e32 v2, v155, v6
	v_fma_f32 v5, v155, v7, -v5
	v_cvt_f64_f32_e32 v[2:3], v2
	v_cvt_f64_f32_e32 v[6:7], v5
	v_cvt_f32_f64_e32 v5, v[0:1]
	v_mov_b32_e32 v0, s4
	v_add_co_u32_e32 v8, vcc, s5, v8
	v_addc_co_u32_e32 v9, vcc, v9, v0, vcc
	v_add_u32_e32 v0, 0xc00, v199
	v_mul_f64 v[10:11], v[2:3], s[0:1]
	v_mul_f64 v[6:7], v[6:7], s[0:1]
	ds_read2_b64 v[0:3], v0 offset0:120 offset1:183
	global_store_dwordx2 v[8:9], v[4:5], off
	v_mov_b32_e32 v14, s2
	v_add_co_u32_e32 v8, vcc, s3, v8
	s_waitcnt lgkmcnt(0)
	v_mul_f32_e32 v4, v150, v1
	v_fmac_f32_e32 v4, v149, v0
	v_mul_f32_e32 v0, v150, v0
	v_cvt_f64_f32_e32 v[12:13], v4
	v_fma_f32 v0, v149, v1, -v0
	v_add_u32_e32 v4, 0x2000, v199
	v_cvt_f32_f64_e32 v10, v[10:11]
	v_cvt_f32_f64_e32 v11, v[6:7]
	v_cvt_f64_f32_e32 v[0:1], v0
	ds_read2_b64 v[4:7], v4 offset0:110 offset1:173
	v_addc_co_u32_e32 v9, vcc, v9, v14, vcc
	global_store_dwordx2 v[8:9], v[10:11], off
	v_mul_f64 v[10:11], v[12:13], s[0:1]
	v_mul_f64 v[0:1], v[0:1], s[0:1]
	s_waitcnt lgkmcnt(0)
	v_mul_f32_e32 v12, v145, v5
	v_fmac_f32_e32 v12, v144, v4
	v_mul_f32_e32 v4, v145, v4
	v_fma_f32 v4, v144, v5, -v4
	v_cvt_f64_f32_e32 v[12:13], v12
	v_cvt_f64_f32_e32 v[4:5], v4
	v_cvt_f32_f64_e32 v10, v[10:11]
	v_cvt_f32_f64_e32 v11, v[0:1]
	v_mul_f64 v[0:1], v[12:13], s[0:1]
	v_mul_f64 v[4:5], v[4:5], s[0:1]
	v_mov_b32_e32 v12, s4
	v_add_co_u32_e32 v8, vcc, s5, v8
	v_addc_co_u32_e32 v9, vcc, v9, v12, vcc
	global_store_dwordx2 v[8:9], v[10:11], off
	v_cvt_f32_f64_e32 v0, v[0:1]
	v_cvt_f32_f64_e32 v1, v[4:5]
	v_mul_f32_e32 v4, v141, v3
	v_fmac_f32_e32 v4, v140, v2
	v_mul_f32_e32 v2, v141, v2
	v_fma_f32 v2, v140, v3, -v2
	v_cvt_f64_f32_e32 v[4:5], v4
	v_cvt_f64_f32_e32 v[2:3], v2
	v_mov_b32_e32 v10, s2
	v_add_co_u32_e32 v8, vcc, s3, v8
	v_addc_co_u32_e32 v9, vcc, v9, v10, vcc
	global_store_dwordx2 v[8:9], v[0:1], off
	v_mul_f64 v[0:1], v[4:5], s[0:1]
	v_mul_f64 v[2:3], v[2:3], s[0:1]
	v_mul_f32_e32 v4, v143, v7
	v_fmac_f32_e32 v4, v142, v6
	v_mul_f32_e32 v6, v143, v6
	v_fma_f32 v6, v142, v7, -v6
	v_cvt_f64_f32_e32 v[4:5], v4
	v_cvt_f64_f32_e32 v[6:7], v6
	v_cvt_f32_f64_e32 v0, v[0:1]
	v_cvt_f32_f64_e32 v1, v[2:3]
	v_mul_f64 v[2:3], v[4:5], s[0:1]
	v_mul_f64 v[4:5], v[6:7], s[0:1]
	v_mov_b32_e32 v7, s4
	v_add_co_u32_e32 v6, vcc, s5, v8
	v_addc_co_u32_e32 v7, vcc, v9, v7, vcc
	global_store_dwordx2 v[6:7], v[0:1], off
	v_cvt_f32_f64_e32 v0, v[2:3]
	v_cvt_f32_f64_e32 v1, v[4:5]
	v_mov_b32_e32 v3, s2
	v_add_co_u32_e32 v2, vcc, s3, v6
	v_addc_co_u32_e32 v3, vcc, v7, v3, vcc
	global_store_dwordx2 v[2:3], v[0:1], off
.LBB0_26:
	s_endpgm
	.section	.rodata,"a",@progbits
	.p2align	6, 0x0
	.amdhsa_kernel bluestein_single_fwd_len1260_dim1_sp_op_CI_CI
		.amdhsa_group_segment_fixed_size 10080
		.amdhsa_private_segment_fixed_size 76
		.amdhsa_kernarg_size 104
		.amdhsa_user_sgpr_count 6
		.amdhsa_user_sgpr_private_segment_buffer 1
		.amdhsa_user_sgpr_dispatch_ptr 0
		.amdhsa_user_sgpr_queue_ptr 0
		.amdhsa_user_sgpr_kernarg_segment_ptr 1
		.amdhsa_user_sgpr_dispatch_id 0
		.amdhsa_user_sgpr_flat_scratch_init 0
		.amdhsa_user_sgpr_private_segment_size 0
		.amdhsa_uses_dynamic_stack 0
		.amdhsa_system_sgpr_private_segment_wavefront_offset 1
		.amdhsa_system_sgpr_workgroup_id_x 1
		.amdhsa_system_sgpr_workgroup_id_y 0
		.amdhsa_system_sgpr_workgroup_id_z 0
		.amdhsa_system_sgpr_workgroup_info 0
		.amdhsa_system_vgpr_workitem_id 0
		.amdhsa_next_free_vgpr 256
		.amdhsa_next_free_sgpr 24
		.amdhsa_reserve_vcc 1
		.amdhsa_reserve_flat_scratch 0
		.amdhsa_float_round_mode_32 0
		.amdhsa_float_round_mode_16_64 0
		.amdhsa_float_denorm_mode_32 3
		.amdhsa_float_denorm_mode_16_64 3
		.amdhsa_dx10_clamp 1
		.amdhsa_ieee_mode 1
		.amdhsa_fp16_overflow 0
		.amdhsa_exception_fp_ieee_invalid_op 0
		.amdhsa_exception_fp_denorm_src 0
		.amdhsa_exception_fp_ieee_div_zero 0
		.amdhsa_exception_fp_ieee_overflow 0
		.amdhsa_exception_fp_ieee_underflow 0
		.amdhsa_exception_fp_ieee_inexact 0
		.amdhsa_exception_int_div_zero 0
	.end_amdhsa_kernel
	.text
.Lfunc_end0:
	.size	bluestein_single_fwd_len1260_dim1_sp_op_CI_CI, .Lfunc_end0-bluestein_single_fwd_len1260_dim1_sp_op_CI_CI
                                        ; -- End function
	.section	.AMDGPU.csdata,"",@progbits
; Kernel info:
; codeLenInByte = 21084
; NumSgprs: 28
; NumVgprs: 256
; ScratchSize: 76
; MemoryBound: 0
; FloatMode: 240
; IeeeMode: 1
; LDSByteSize: 10080 bytes/workgroup (compile time only)
; SGPRBlocks: 3
; VGPRBlocks: 63
; NumSGPRsForWavesPerEU: 28
; NumVGPRsForWavesPerEU: 256
; Occupancy: 1
; WaveLimiterHint : 1
; COMPUTE_PGM_RSRC2:SCRATCH_EN: 1
; COMPUTE_PGM_RSRC2:USER_SGPR: 6
; COMPUTE_PGM_RSRC2:TRAP_HANDLER: 0
; COMPUTE_PGM_RSRC2:TGID_X_EN: 1
; COMPUTE_PGM_RSRC2:TGID_Y_EN: 0
; COMPUTE_PGM_RSRC2:TGID_Z_EN: 0
; COMPUTE_PGM_RSRC2:TIDIG_COMP_CNT: 0
	.type	__hip_cuid_7a6404d7a785576f,@object ; @__hip_cuid_7a6404d7a785576f
	.section	.bss,"aw",@nobits
	.globl	__hip_cuid_7a6404d7a785576f
__hip_cuid_7a6404d7a785576f:
	.byte	0                               ; 0x0
	.size	__hip_cuid_7a6404d7a785576f, 1

	.ident	"AMD clang version 19.0.0git (https://github.com/RadeonOpenCompute/llvm-project roc-6.4.0 25133 c7fe45cf4b819c5991fe208aaa96edf142730f1d)"
	.section	".note.GNU-stack","",@progbits
	.addrsig
	.addrsig_sym __hip_cuid_7a6404d7a785576f
	.amdgpu_metadata
---
amdhsa.kernels:
  - .args:
      - .actual_access:  read_only
        .address_space:  global
        .offset:         0
        .size:           8
        .value_kind:     global_buffer
      - .actual_access:  read_only
        .address_space:  global
        .offset:         8
        .size:           8
        .value_kind:     global_buffer
      - .actual_access:  read_only
        .address_space:  global
        .offset:         16
        .size:           8
        .value_kind:     global_buffer
      - .actual_access:  read_only
        .address_space:  global
        .offset:         24
        .size:           8
        .value_kind:     global_buffer
      - .actual_access:  read_only
        .address_space:  global
        .offset:         32
        .size:           8
        .value_kind:     global_buffer
      - .offset:         40
        .size:           8
        .value_kind:     by_value
      - .address_space:  global
        .offset:         48
        .size:           8
        .value_kind:     global_buffer
      - .address_space:  global
        .offset:         56
        .size:           8
        .value_kind:     global_buffer
      - .address_space:  global
        .offset:         64
        .size:           8
        .value_kind:     global_buffer
      - .address_space:  global
        .offset:         72
        .size:           8
        .value_kind:     global_buffer
      - .offset:         80
        .size:           4
        .value_kind:     by_value
      - .address_space:  global
        .offset:         88
        .size:           8
        .value_kind:     global_buffer
      - .address_space:  global
        .offset:         96
        .size:           8
        .value_kind:     global_buffer
    .group_segment_fixed_size: 10080
    .kernarg_segment_align: 8
    .kernarg_segment_size: 104
    .language:       OpenCL C
    .language_version:
      - 2
      - 0
    .max_flat_workgroup_size: 63
    .name:           bluestein_single_fwd_len1260_dim1_sp_op_CI_CI
    .private_segment_fixed_size: 76
    .sgpr_count:     28
    .sgpr_spill_count: 0
    .symbol:         bluestein_single_fwd_len1260_dim1_sp_op_CI_CI.kd
    .uniform_work_group_size: 1
    .uses_dynamic_stack: false
    .vgpr_count:     256
    .vgpr_spill_count: 18
    .wavefront_size: 64
amdhsa.target:   amdgcn-amd-amdhsa--gfx906
amdhsa.version:
  - 1
  - 2
...

	.end_amdgpu_metadata
